;; amdgpu-corpus repo=ROCm/rocFFT kind=compiled arch=gfx1030 opt=O3
	.text
	.amdgcn_target "amdgcn-amd-amdhsa--gfx1030"
	.amdhsa_code_object_version 6
	.protected	fft_rtc_back_len1836_factors_17_3_3_2_6_wgs_153_tpt_153_halfLds_dp_op_CI_CI_unitstride_sbrr_C2R_dirReg ; -- Begin function fft_rtc_back_len1836_factors_17_3_3_2_6_wgs_153_tpt_153_halfLds_dp_op_CI_CI_unitstride_sbrr_C2R_dirReg
	.globl	fft_rtc_back_len1836_factors_17_3_3_2_6_wgs_153_tpt_153_halfLds_dp_op_CI_CI_unitstride_sbrr_C2R_dirReg
	.p2align	8
	.type	fft_rtc_back_len1836_factors_17_3_3_2_6_wgs_153_tpt_153_halfLds_dp_op_CI_CI_unitstride_sbrr_C2R_dirReg,@function
fft_rtc_back_len1836_factors_17_3_3_2_6_wgs_153_tpt_153_halfLds_dp_op_CI_CI_unitstride_sbrr_C2R_dirReg: ; @fft_rtc_back_len1836_factors_17_3_3_2_6_wgs_153_tpt_153_halfLds_dp_op_CI_CI_unitstride_sbrr_C2R_dirReg
; %bb.0:
	s_clause 0x2
	s_load_dwordx4 s[12:15], s[4:5], 0x0
	s_load_dwordx4 s[8:11], s[4:5], 0x58
	;; [unrolled: 1-line block ×3, first 2 shown]
	v_mul_u32_u24_e32 v1, 0x1ad, v0
	v_mov_b32_e32 v3, 0
	v_add_nc_u32_sdwa v5, s6, v1 dst_sel:DWORD dst_unused:UNUSED_PAD src0_sel:DWORD src1_sel:WORD_1
	v_mov_b32_e32 v1, 0
	v_mov_b32_e32 v6, v3
	v_mov_b32_e32 v2, 0
	s_waitcnt lgkmcnt(0)
	v_cmp_lt_u64_e64 s0, s[14:15], 2
	s_and_b32 vcc_lo, exec_lo, s0
	s_cbranch_vccnz .LBB0_8
; %bb.1:
	s_load_dwordx2 s[0:1], s[4:5], 0x10
	v_mov_b32_e32 v1, 0
	v_mov_b32_e32 v2, 0
	s_add_u32 s2, s18, 8
	s_addc_u32 s3, s19, 0
	s_add_u32 s6, s16, 8
	s_addc_u32 s7, s17, 0
	v_mov_b32_e32 v69, v2
	v_mov_b32_e32 v68, v1
	s_mov_b64 s[22:23], 1
	s_waitcnt lgkmcnt(0)
	s_add_u32 s20, s0, 8
	s_addc_u32 s21, s1, 0
.LBB0_2:                                ; =>This Inner Loop Header: Depth=1
	s_load_dwordx2 s[24:25], s[20:21], 0x0
                                        ; implicit-def: $vgpr72_vgpr73
	s_mov_b32 s0, exec_lo
	s_waitcnt lgkmcnt(0)
	v_or_b32_e32 v4, s25, v6
	v_cmpx_ne_u64_e32 0, v[3:4]
	s_xor_b32 s1, exec_lo, s0
	s_cbranch_execz .LBB0_4
; %bb.3:                                ;   in Loop: Header=BB0_2 Depth=1
	v_cvt_f32_u32_e32 v4, s24
	v_cvt_f32_u32_e32 v7, s25
	s_sub_u32 s0, 0, s24
	s_subb_u32 s26, 0, s25
	v_fmac_f32_e32 v4, 0x4f800000, v7
	v_rcp_f32_e32 v4, v4
	v_mul_f32_e32 v4, 0x5f7ffffc, v4
	v_mul_f32_e32 v7, 0x2f800000, v4
	v_trunc_f32_e32 v7, v7
	v_fmac_f32_e32 v4, 0xcf800000, v7
	v_cvt_u32_f32_e32 v7, v7
	v_cvt_u32_f32_e32 v4, v4
	v_mul_lo_u32 v8, s0, v7
	v_mul_hi_u32 v9, s0, v4
	v_mul_lo_u32 v10, s26, v4
	v_add_nc_u32_e32 v8, v9, v8
	v_mul_lo_u32 v9, s0, v4
	v_add_nc_u32_e32 v8, v8, v10
	v_mul_hi_u32 v10, v4, v9
	v_mul_lo_u32 v11, v4, v8
	v_mul_hi_u32 v12, v4, v8
	v_mul_hi_u32 v13, v7, v9
	v_mul_lo_u32 v9, v7, v9
	v_mul_hi_u32 v14, v7, v8
	v_mul_lo_u32 v8, v7, v8
	v_add_co_u32 v10, vcc_lo, v10, v11
	v_add_co_ci_u32_e32 v11, vcc_lo, 0, v12, vcc_lo
	v_add_co_u32 v9, vcc_lo, v10, v9
	v_add_co_ci_u32_e32 v9, vcc_lo, v11, v13, vcc_lo
	v_add_co_ci_u32_e32 v10, vcc_lo, 0, v14, vcc_lo
	v_add_co_u32 v8, vcc_lo, v9, v8
	v_add_co_ci_u32_e32 v9, vcc_lo, 0, v10, vcc_lo
	v_add_co_u32 v4, vcc_lo, v4, v8
	v_add_co_ci_u32_e32 v7, vcc_lo, v7, v9, vcc_lo
	v_mul_hi_u32 v8, s0, v4
	v_mul_lo_u32 v10, s26, v4
	v_mul_lo_u32 v9, s0, v7
	v_add_nc_u32_e32 v8, v8, v9
	v_mul_lo_u32 v9, s0, v4
	v_add_nc_u32_e32 v8, v8, v10
	v_mul_hi_u32 v10, v4, v9
	v_mul_lo_u32 v11, v4, v8
	v_mul_hi_u32 v12, v4, v8
	v_mul_hi_u32 v13, v7, v9
	v_mul_lo_u32 v9, v7, v9
	v_mul_hi_u32 v14, v7, v8
	v_mul_lo_u32 v8, v7, v8
	v_add_co_u32 v10, vcc_lo, v10, v11
	v_add_co_ci_u32_e32 v11, vcc_lo, 0, v12, vcc_lo
	v_add_co_u32 v9, vcc_lo, v10, v9
	v_add_co_ci_u32_e32 v9, vcc_lo, v11, v13, vcc_lo
	v_add_co_ci_u32_e32 v10, vcc_lo, 0, v14, vcc_lo
	v_add_co_u32 v8, vcc_lo, v9, v8
	v_add_co_ci_u32_e32 v9, vcc_lo, 0, v10, vcc_lo
	v_add_co_u32 v4, vcc_lo, v4, v8
	v_add_co_ci_u32_e32 v11, vcc_lo, v7, v9, vcc_lo
	v_mul_hi_u32 v13, v5, v4
	v_mad_u64_u32 v[9:10], null, v6, v4, 0
	v_mad_u64_u32 v[7:8], null, v5, v11, 0
	;; [unrolled: 1-line block ×3, first 2 shown]
	v_add_co_u32 v4, vcc_lo, v13, v7
	v_add_co_ci_u32_e32 v7, vcc_lo, 0, v8, vcc_lo
	v_add_co_u32 v4, vcc_lo, v4, v9
	v_add_co_ci_u32_e32 v4, vcc_lo, v7, v10, vcc_lo
	v_add_co_ci_u32_e32 v7, vcc_lo, 0, v12, vcc_lo
	v_add_co_u32 v4, vcc_lo, v4, v11
	v_add_co_ci_u32_e32 v9, vcc_lo, 0, v7, vcc_lo
	v_mul_lo_u32 v10, s25, v4
	v_mad_u64_u32 v[7:8], null, s24, v4, 0
	v_mul_lo_u32 v11, s24, v9
	v_sub_co_u32 v7, vcc_lo, v5, v7
	v_add3_u32 v8, v8, v11, v10
	v_sub_nc_u32_e32 v10, v6, v8
	v_subrev_co_ci_u32_e64 v10, s0, s25, v10, vcc_lo
	v_add_co_u32 v11, s0, v4, 2
	v_add_co_ci_u32_e64 v12, s0, 0, v9, s0
	v_sub_co_u32 v13, s0, v7, s24
	v_sub_co_ci_u32_e32 v8, vcc_lo, v6, v8, vcc_lo
	v_subrev_co_ci_u32_e64 v10, s0, 0, v10, s0
	v_cmp_le_u32_e32 vcc_lo, s24, v13
	v_cmp_eq_u32_e64 s0, s25, v8
	v_cndmask_b32_e64 v13, 0, -1, vcc_lo
	v_cmp_le_u32_e32 vcc_lo, s25, v10
	v_cndmask_b32_e64 v14, 0, -1, vcc_lo
	v_cmp_le_u32_e32 vcc_lo, s24, v7
	;; [unrolled: 2-line block ×3, first 2 shown]
	v_cndmask_b32_e64 v15, 0, -1, vcc_lo
	v_cmp_eq_u32_e32 vcc_lo, s25, v10
	v_cndmask_b32_e64 v7, v15, v7, s0
	v_cndmask_b32_e32 v10, v14, v13, vcc_lo
	v_add_co_u32 v13, vcc_lo, v4, 1
	v_add_co_ci_u32_e32 v14, vcc_lo, 0, v9, vcc_lo
	v_cmp_ne_u32_e32 vcc_lo, 0, v10
	v_cndmask_b32_e32 v8, v14, v12, vcc_lo
	v_cndmask_b32_e32 v10, v13, v11, vcc_lo
	v_cmp_ne_u32_e32 vcc_lo, 0, v7
	v_cndmask_b32_e32 v73, v9, v8, vcc_lo
	v_cndmask_b32_e32 v72, v4, v10, vcc_lo
.LBB0_4:                                ;   in Loop: Header=BB0_2 Depth=1
	s_andn2_saveexec_b32 s0, s1
	s_cbranch_execz .LBB0_6
; %bb.5:                                ;   in Loop: Header=BB0_2 Depth=1
	v_cvt_f32_u32_e32 v4, s24
	s_sub_i32 s1, 0, s24
	v_mov_b32_e32 v73, v3
	v_rcp_iflag_f32_e32 v4, v4
	v_mul_f32_e32 v4, 0x4f7ffffe, v4
	v_cvt_u32_f32_e32 v4, v4
	v_mul_lo_u32 v7, s1, v4
	v_mul_hi_u32 v7, v4, v7
	v_add_nc_u32_e32 v4, v4, v7
	v_mul_hi_u32 v4, v5, v4
	v_mul_lo_u32 v7, v4, s24
	v_add_nc_u32_e32 v8, 1, v4
	v_sub_nc_u32_e32 v7, v5, v7
	v_subrev_nc_u32_e32 v9, s24, v7
	v_cmp_le_u32_e32 vcc_lo, s24, v7
	v_cndmask_b32_e32 v7, v7, v9, vcc_lo
	v_cndmask_b32_e32 v4, v4, v8, vcc_lo
	v_cmp_le_u32_e32 vcc_lo, s24, v7
	v_add_nc_u32_e32 v8, 1, v4
	v_cndmask_b32_e32 v72, v4, v8, vcc_lo
.LBB0_6:                                ;   in Loop: Header=BB0_2 Depth=1
	s_or_b32 exec_lo, exec_lo, s0
	v_mul_lo_u32 v4, v73, s24
	v_mul_lo_u32 v9, v72, s25
	s_load_dwordx2 s[0:1], s[6:7], 0x0
	v_mad_u64_u32 v[7:8], null, v72, s24, 0
	s_load_dwordx2 s[24:25], s[2:3], 0x0
	s_add_u32 s22, s22, 1
	s_addc_u32 s23, s23, 0
	s_add_u32 s2, s2, 8
	s_addc_u32 s3, s3, 0
	s_add_u32 s6, s6, 8
	v_add3_u32 v4, v8, v9, v4
	v_sub_co_u32 v5, vcc_lo, v5, v7
	s_addc_u32 s7, s7, 0
	s_add_u32 s20, s20, 8
	v_sub_co_ci_u32_e32 v4, vcc_lo, v6, v4, vcc_lo
	s_addc_u32 s21, s21, 0
	s_waitcnt lgkmcnt(0)
	v_mul_lo_u32 v6, s0, v4
	v_mul_lo_u32 v7, s1, v5
	v_mad_u64_u32 v[1:2], null, s0, v5, v[1:2]
	v_mul_lo_u32 v4, s24, v4
	v_mul_lo_u32 v8, s25, v5
	v_mad_u64_u32 v[68:69], null, s24, v5, v[68:69]
	v_cmp_ge_u64_e64 s0, s[22:23], s[14:15]
	v_add3_u32 v2, v7, v2, v6
	v_add3_u32 v69, v8, v69, v4
	s_and_b32 vcc_lo, exec_lo, s0
	s_cbranch_vccnz .LBB0_9
; %bb.7:                                ;   in Loop: Header=BB0_2 Depth=1
	v_mov_b32_e32 v5, v72
	v_mov_b32_e32 v6, v73
	s_branch .LBB0_2
.LBB0_8:
	v_mov_b32_e32 v69, v2
	v_mov_b32_e32 v73, v6
	;; [unrolled: 1-line block ×4, first 2 shown]
.LBB0_9:
	s_load_dwordx2 s[0:1], s[4:5], 0x28
	v_mul_hi_u32 v3, 0x1ac5702, v0
	s_lshl_b64 s[4:5], s[14:15], 3
                                        ; implicit-def: $vgpr70
                                        ; implicit-def: $vgpr4_vgpr5
	s_add_u32 s2, s18, s4
	s_addc_u32 s3, s19, s5
	s_waitcnt lgkmcnt(0)
	v_cmp_gt_u64_e32 vcc_lo, s[0:1], v[72:73]
	v_cmp_le_u64_e64 s0, s[0:1], v[72:73]
	s_and_saveexec_b32 s1, s0
	s_xor_b32 s0, exec_lo, s1
; %bb.10:
	v_mul_u32_u24_e32 v1, 0x99, v3
	v_mov_b32_e32 v71, 0
                                        ; implicit-def: $vgpr3
	v_sub_nc_u32_e32 v70, v0, v1
                                        ; implicit-def: $vgpr0
                                        ; implicit-def: $vgpr1_vgpr2
	v_mov_b32_e32 v4, v70
	v_mov_b32_e32 v5, v71
; %bb.11:
	s_or_saveexec_b32 s1, s0
	s_load_dwordx2 s[2:3], s[2:3], 0x0
	s_xor_b32 exec_lo, exec_lo, s1
	s_cbranch_execz .LBB0_15
; %bb.12:
	s_add_u32 s4, s16, s4
	s_addc_u32 s5, s17, s5
	v_lshlrev_b64 v[1:2], 4, v[1:2]
	s_load_dwordx2 s[4:5], s[4:5], 0x0
	v_mov_b32_e32 v71, 0
	s_waitcnt lgkmcnt(0)
	v_mul_lo_u32 v6, s5, v72
	v_mul_lo_u32 v7, s4, v73
	v_mad_u64_u32 v[4:5], null, s4, v72, 0
	s_mov_b32 s4, exec_lo
	v_add3_u32 v5, v5, v7, v6
	v_mul_u32_u24_e32 v6, 0x99, v3
	v_lshlrev_b64 v[3:4], 4, v[4:5]
	v_sub_nc_u32_e32 v70, v0, v6
	v_lshlrev_b32_e32 v54, 4, v70
	v_add_co_u32 v0, s0, s8, v3
	v_add_co_ci_u32_e64 v3, s0, s9, v4, s0
	v_add_co_u32 v0, s0, v0, v1
	v_add_co_ci_u32_e64 v1, s0, v3, v2, s0
	v_add_co_u32 v2, s0, v0, v54
	v_add_co_ci_u32_e64 v3, s0, 0, v1, s0
	v_add_co_u32 v4, s0, 0x800, v2
	v_add_co_ci_u32_e64 v5, s0, 0, v3, s0
	v_add_co_u32 v14, s0, 0x1000, v2
	v_add_co_ci_u32_e64 v15, s0, 0, v3, s0
	v_add_co_u32 v18, s0, 0x1800, v2
	v_add_co_ci_u32_e64 v19, s0, 0, v3, s0
	v_add_co_u32 v22, s0, 0x2000, v2
	v_add_co_ci_u32_e64 v23, s0, 0, v3, s0
	v_add_co_u32 v26, s0, 0x2800, v2
	v_add_co_ci_u32_e64 v27, s0, 0, v3, s0
	v_add_co_u32 v30, s0, 0x3800, v2
	v_add_co_ci_u32_e64 v31, s0, 0, v3, s0
	v_add_co_u32 v34, s0, 0x4000, v2
	v_add_co_ci_u32_e64 v35, s0, 0, v3, s0
	v_add_co_u32 v38, s0, 0x4800, v2
	v_add_co_ci_u32_e64 v39, s0, 0, v3, s0
	s_clause 0x5
	global_load_dwordx4 v[6:9], v[2:3], off
	global_load_dwordx4 v[10:13], v[4:5], off offset:400
	global_load_dwordx4 v[14:17], v[14:15], off offset:800
	;; [unrolled: 1-line block ×5, first 2 shown]
	v_add_co_u32 v4, s0, 0x5000, v2
	v_add_co_ci_u32_e64 v5, s0, 0, v3, s0
	v_add_co_u32 v46, s0, 0x5800, v2
	v_add_co_ci_u32_e64 v47, s0, 0, v3, s0
	;; [unrolled: 2-line block ×3, first 2 shown]
	s_clause 0x5
	global_load_dwordx4 v[30:33], v[30:31], off offset:352
	global_load_dwordx4 v[34:37], v[34:35], off offset:752
	;; [unrolled: 1-line block ×6, first 2 shown]
	v_mov_b32_e32 v4, v70
	v_add_nc_u32_e32 v2, 0, v54
	v_mov_b32_e32 v5, v71
	s_waitcnt vmcnt(11)
	ds_write_b128 v2, v[6:9]
	s_waitcnt vmcnt(10)
	ds_write_b128 v2, v[10:13] offset:2448
	s_waitcnt vmcnt(9)
	ds_write_b128 v2, v[14:17] offset:4896
	;; [unrolled: 2-line block ×11, first 2 shown]
	v_cmpx_eq_u32_e32 0x98, v70
	s_cbranch_execz .LBB0_14
; %bb.13:
	v_add_co_u32 v0, s0, 0x7000, v0
	v_add_co_ci_u32_e64 v1, s0, 0, v1, s0
	v_mov_b32_e32 v4, 0x98
	v_mov_b32_e32 v5, 0
	;; [unrolled: 1-line block ×3, first 2 shown]
	global_load_dwordx4 v[0:3], v[0:1], off offset:704
	s_waitcnt vmcnt(0)
	ds_write_b128 v71, v[0:3] offset:29376
.LBB0_14:
	s_or_b32 exec_lo, exec_lo, s4
.LBB0_15:
	s_or_b32 exec_lo, exec_lo, s1
	v_lshlrev_b32_e32 v0, 4, v70
	s_waitcnt lgkmcnt(0)
	s_barrier
	buffer_gl0_inv
	v_lshlrev_b64 v[74:75], 4, v[4:5]
	v_add_nc_u32_e32 v71, 0, v0
	v_sub_nc_u32_e32 v10, 0, v0
	s_add_u32 s1, s12, 0x71b0
	s_addc_u32 s4, s13, 0
	s_mov_b32 s5, exec_lo
	ds_read_b64 v[6:7], v71
	ds_read_b64 v[8:9], v10 offset:29376
	s_waitcnt lgkmcnt(0)
	v_add_f64 v[0:1], v[6:7], v[8:9]
	v_add_f64 v[2:3], v[6:7], -v[8:9]
	v_cmpx_ne_u32_e32 0, v70
	s_xor_b32 s5, exec_lo, s5
	s_cbranch_execz .LBB0_17
; %bb.16:
	v_add_co_u32 v0, s0, s1, v74
	v_add_co_ci_u32_e64 v1, s0, s4, v75, s0
	v_add_f64 v[13:14], v[6:7], v[8:9]
	v_add_f64 v[8:9], v[6:7], -v[8:9]
	global_load_dwordx4 v[2:5], v[0:1], off
	ds_read_b64 v[0:1], v10 offset:29384
	ds_read_b64 v[11:12], v71 offset:8
	s_waitcnt lgkmcnt(0)
	v_add_f64 v[6:7], v[0:1], v[11:12]
	v_add_f64 v[0:1], v[11:12], -v[0:1]
	s_waitcnt vmcnt(0)
	v_fma_f64 v[11:12], v[8:9], v[4:5], v[13:14]
	v_fma_f64 v[13:14], -v[8:9], v[4:5], v[13:14]
	v_fma_f64 v[15:16], v[6:7], v[4:5], -v[0:1]
	v_fma_f64 v[17:18], v[6:7], v[4:5], v[0:1]
	v_fma_f64 v[0:1], -v[6:7], v[2:3], v[11:12]
	v_fma_f64 v[4:5], v[6:7], v[2:3], v[13:14]
	v_fma_f64 v[6:7], v[8:9], v[2:3], v[15:16]
	;; [unrolled: 1-line block ×3, first 2 shown]
	ds_write_b128 v10, v[4:7] offset:29376
.LBB0_17:
	s_andn2_saveexec_b32 s0, s5
	s_cbranch_execz .LBB0_19
; %bb.18:
	v_mov_b32_e32 v8, 0
	ds_read_b128 v[4:7], v8 offset:14688
	s_waitcnt lgkmcnt(0)
	v_add_f64 v[4:5], v[4:5], v[4:5]
	v_mul_f64 v[6:7], v[6:7], -2.0
	ds_write_b128 v8, v[4:7] offset:14688
.LBB0_19:
	s_or_b32 exec_lo, exec_lo, s0
	v_add_nc_u32_e32 v81, 0x99, v70
	v_mov_b32_e32 v82, 0
	v_add_nc_u32_e32 v76, 0x132, v70
	ds_write_b128 v71, v[0:3]
	s_mov_b32 s33, exec_lo
	v_lshlrev_b64 v[4:5], 4, v[81:82]
	v_mov_b32_e32 v77, v82
	v_mov_b32_e32 v78, v82
	;; [unrolled: 1-line block ×4, first 2 shown]
	v_add_co_u32 v4, s0, s1, v4
	v_add_co_ci_u32_e64 v5, s0, s4, v5, s0
	v_lshlrev_b64 v[8:9], 4, v[76:77]
	v_add_nc_u32_e32 v77, 0x1cb, v70
	global_load_dwordx4 v[4:7], v[4:5], off
	v_add_co_u32 v8, s0, s1, v8
	v_add_co_ci_u32_e64 v9, s0, s4, v9, s0
	global_load_dwordx4 v[11:14], v[8:9], off
	v_lshlrev_b64 v[8:9], 4, v[77:78]
	v_add_nc_u32_e32 v78, 0x264, v70
	v_add_co_u32 v8, s0, s1, v8
	v_add_co_ci_u32_e64 v9, s0, s4, v9, s0
	global_load_dwordx4 v[15:18], v[8:9], off
	v_lshlrev_b64 v[8:9], 4, v[78:79]
	ds_read_b128 v[0:3], v71 offset:2448
	ds_read_b128 v[19:22], v10 offset:26928
	v_add_nc_u32_e32 v79, 0x2fd, v70
	v_add_co_u32 v8, s0, s1, v8
	v_add_co_ci_u32_e64 v9, s0, s4, v9, s0
	global_load_dwordx4 v[23:26], v[8:9], off
	s_waitcnt lgkmcnt(0)
	v_add_f64 v[8:9], v[0:1], v[19:20]
	v_add_f64 v[27:28], v[21:22], v[2:3]
	v_add_f64 v[19:20], v[0:1], -v[19:20]
	v_add_f64 v[0:1], v[2:3], -v[21:22]
	s_waitcnt vmcnt(3)
	v_fma_f64 v[2:3], v[19:20], v[6:7], v[8:9]
	v_fma_f64 v[21:22], v[27:28], v[6:7], v[0:1]
	v_fma_f64 v[8:9], -v[19:20], v[6:7], v[8:9]
	v_fma_f64 v[29:30], v[27:28], v[6:7], -v[0:1]
	v_fma_f64 v[0:1], -v[27:28], v[4:5], v[2:3]
	v_fma_f64 v[2:3], v[19:20], v[4:5], v[21:22]
	v_fma_f64 v[6:7], v[27:28], v[4:5], v[8:9]
	;; [unrolled: 1-line block ×3, first 2 shown]
	v_lshlrev_b64 v[4:5], 4, v[79:80]
	ds_write_b128 v71, v[0:3] offset:2448
	ds_write_b128 v10, v[6:9] offset:26928
	v_add_co_u32 v19, s0, s1, v4
	v_add_co_ci_u32_e64 v20, s0, s4, v5, s0
	ds_read_b128 v[0:3], v71 offset:4896
	ds_read_b128 v[4:7], v10 offset:24480
	global_load_dwordx4 v[19:22], v[19:20], off
	s_waitcnt lgkmcnt(0)
	v_add_f64 v[8:9], v[0:1], v[4:5]
	v_add_f64 v[27:28], v[6:7], v[2:3]
	v_add_f64 v[29:30], v[0:1], -v[4:5]
	v_add_f64 v[0:1], v[2:3], -v[6:7]
	s_waitcnt vmcnt(3)
	v_fma_f64 v[2:3], v[29:30], v[13:14], v[8:9]
	v_fma_f64 v[4:5], v[27:28], v[13:14], v[0:1]
	v_fma_f64 v[6:7], -v[29:30], v[13:14], v[8:9]
	v_fma_f64 v[8:9], v[27:28], v[13:14], -v[0:1]
	v_fma_f64 v[0:1], -v[27:28], v[11:12], v[2:3]
	v_fma_f64 v[2:3], v[29:30], v[11:12], v[4:5]
	v_fma_f64 v[4:5], v[27:28], v[11:12], v[6:7]
	v_fma_f64 v[6:7], v[29:30], v[11:12], v[8:9]
	ds_write_b128 v71, v[0:3] offset:4896
	ds_write_b128 v10, v[4:7] offset:24480
	ds_read_b128 v[0:3], v71 offset:7344
	ds_read_b128 v[4:7], v10 offset:22032
	s_waitcnt lgkmcnt(0)
	v_add_f64 v[8:9], v[0:1], v[4:5]
	v_add_f64 v[11:12], v[6:7], v[2:3]
	v_add_f64 v[13:14], v[0:1], -v[4:5]
	v_add_f64 v[0:1], v[2:3], -v[6:7]
	s_waitcnt vmcnt(2)
	v_fma_f64 v[2:3], v[13:14], v[17:18], v[8:9]
	v_fma_f64 v[4:5], v[11:12], v[17:18], v[0:1]
	v_fma_f64 v[6:7], -v[13:14], v[17:18], v[8:9]
	v_fma_f64 v[8:9], v[11:12], v[17:18], -v[0:1]
	v_fma_f64 v[0:1], -v[11:12], v[15:16], v[2:3]
	v_fma_f64 v[2:3], v[13:14], v[15:16], v[4:5]
	v_fma_f64 v[4:5], v[11:12], v[15:16], v[6:7]
	v_fma_f64 v[6:7], v[13:14], v[15:16], v[8:9]
	ds_write_b128 v71, v[0:3] offset:7344
	ds_write_b128 v10, v[4:7] offset:22032
	ds_read_b128 v[0:3], v71 offset:9792
	ds_read_b128 v[4:7], v10 offset:19584
	;; [unrolled: 18-line block ×3, first 2 shown]
	s_waitcnt lgkmcnt(0)
	v_add_f64 v[8:9], v[0:1], v[4:5]
	v_add_f64 v[11:12], v[6:7], v[2:3]
	v_add_f64 v[13:14], v[0:1], -v[4:5]
	v_add_f64 v[0:1], v[2:3], -v[6:7]
	s_waitcnt vmcnt(0)
	v_fma_f64 v[2:3], v[13:14], v[21:22], v[8:9]
	v_fma_f64 v[4:5], v[11:12], v[21:22], v[0:1]
	v_fma_f64 v[6:7], -v[13:14], v[21:22], v[8:9]
	v_fma_f64 v[8:9], v[11:12], v[21:22], -v[0:1]
	v_fma_f64 v[0:1], -v[11:12], v[19:20], v[2:3]
	v_fma_f64 v[2:3], v[13:14], v[19:20], v[4:5]
	v_fma_f64 v[4:5], v[11:12], v[19:20], v[6:7]
	;; [unrolled: 1-line block ×3, first 2 shown]
	ds_write_b128 v71, v[0:3] offset:12240
	ds_write_b128 v10, v[4:7] offset:17136
	s_waitcnt lgkmcnt(0)
	s_barrier
	buffer_gl0_inv
	s_barrier
	buffer_gl0_inv
	ds_read_b128 v[0:3], v71
	ds_read_b128 v[4:7], v71 offset:1728
	ds_read_b128 v[16:19], v71 offset:3456
	;; [unrolled: 1-line block ×16, first 2 shown]
	s_waitcnt lgkmcnt(0)
	s_barrier
	buffer_gl0_inv
	v_cmpx_gt_u32_e32 0x6c, v70
	s_cbranch_execz .LBB0_21
; %bb.20:
	v_add_f64 v[84:85], v[0:1], v[4:5]
	v_add_f64 v[82:83], v[2:3], v[6:7]
	v_add_f64 v[94:95], v[64:65], -v[60:61]
	v_add_f64 v[108:109], v[52:53], -v[56:57]
	v_add_f64 v[92:93], v[46:47], v[50:51]
	v_add_f64 v[104:105], v[46:47], -v[50:51]
	v_add_f64 v[114:115], v[44:45], -v[48:49]
	v_add_f64 v[90:91], v[44:45], v[48:49]
	v_add_f64 v[98:99], v[38:39], v[42:43]
	v_add_f64 v[112:113], v[38:39], -v[42:43]
	v_add_f64 v[118:119], v[36:37], -v[40:41]
	v_add_f64 v[96:97], v[36:37], v[40:41]
	;; [unrolled: 4-line block ×3, first 2 shown]
	v_add_f64 v[128:129], v[24:25], -v[20:21]
	v_add_f64 v[106:107], v[24:25], v[20:21]
	v_add_f64 v[110:111], v[26:27], v[22:23]
	v_add_f64 v[124:125], v[26:27], -v[22:23]
	v_add_f64 v[132:133], v[16:17], -v[12:13]
	v_add_f64 v[122:123], v[16:17], v[12:13]
	v_add_f64 v[84:85], v[84:85], v[16:17]
	;; [unrolled: 1-line block ×3, first 2 shown]
	v_add_f64 v[138:139], v[4:5], -v[8:9]
	s_mov_b32 s6, 0xacd6c6b4
	s_mov_b32 s7, 0xbfc7851a
	v_add_f64 v[120:121], v[18:19], v[14:15]
	v_add_f64 v[130:131], v[18:19], -v[14:15]
	v_add_f64 v[136:137], v[6:7], v[10:11]
	v_add_f64 v[134:135], v[4:5], v[8:9]
	s_mov_b32 s30, 0x5d8e7cdc
	s_mov_b32 s0, 0x7faef3
	;; [unrolled: 1-line block ×4, first 2 shown]
	v_add_f64 v[140:141], v[6:7], -v[10:11]
	s_mov_b32 s24, 0x370991
	s_mov_b32 s25, 0x3fedd6d0
	s_mov_b32 s16, 0x4363dd80
	s_mov_b32 s17, 0xbfe0d888
	s_mov_b32 s4, 0x910ea3b9
	s_mov_b32 s5, 0xbfeb34fa
	s_mov_b32 s40, 0x2a9d6da3
	s_mov_b32 s41, 0x3fe58eea
	v_add_f64 v[84:85], v[84:85], v[24:25]
	v_add_f64 v[82:83], v[82:83], v[26:27]
	s_mov_b32 s14, 0x75d4884
	s_mov_b32 s15, 0x3fe7a5f6
	;; [unrolled: 1-line block ×4, first 2 shown]
	v_mul_f64 v[18:19], v[130:131], s[30:31]
	s_mov_b32 s8, 0x6ed5f1bb
	s_mov_b32 s9, 0xbfe348c8
	;; [unrolled: 1-line block ×6, first 2 shown]
	v_mul_f64 v[16:17], v[140:141], s[6:7]
	s_mov_b32 s28, 0x923c349f
	s_mov_b32 s29, 0xbfeec746
	;; [unrolled: 1-line block ×8, first 2 shown]
	v_add_f64 v[84:85], v[84:85], v[28:29]
	v_add_f64 v[82:83], v[82:83], v[30:31]
	s_mov_b32 s35, 0xbfefdd0d
	s_mov_b32 s34, s52
	;; [unrolled: 1-line block ×14, first 2 shown]
	v_mul_f64 v[144:145], v[94:95], s[22:23]
	v_mul_f64 v[152:153], v[94:95], s[40:41]
	v_mul_f64 v[160:161], v[94:95], s[16:17]
	v_mul_f64 v[168:169], v[94:95], s[30:31]
	v_lshl_add_u32 v80, v70, 8, v71
	v_add_f64 v[84:85], v[84:85], v[36:37]
	v_add_f64 v[82:83], v[82:83], v[38:39]
	;; [unrolled: 1-line block ×10, first 2 shown]
	v_add_f64 v[64:65], v[66:67], -v[62:63]
	v_add_f64 v[66:67], v[54:55], -v[58:59]
	v_add_f64 v[60:61], v[88:89], v[60:61]
	v_add_f64 v[62:63], v[86:87], v[62:63]
	;; [unrolled: 1-line block ×4, first 2 shown]
	v_mul_f64 v[146:147], v[64:65], s[22:23]
	v_mul_f64 v[154:155], v[64:65], s[40:41]
	;; [unrolled: 1-line block ×4, first 2 shown]
	v_add_f64 v[54:55], v[60:61], v[56:57]
	v_add_f64 v[52:53], v[62:63], v[58:59]
	v_mul_f64 v[58:59], v[94:95], s[36:37]
	v_mul_f64 v[60:61], v[64:65], s[36:37]
	v_add_f64 v[46:47], v[54:55], v[48:49]
	v_add_f64 v[44:45], v[52:53], v[50:51]
	v_mul_f64 v[50:51], v[94:95], s[28:29]
	v_mul_f64 v[52:53], v[64:65], s[28:29]
	;; [unrolled: 4-line block ×3, first 2 shown]
	v_mul_f64 v[94:95], v[94:95], s[6:7]
	v_add_f64 v[30:31], v[38:39], v[32:33]
	v_add_f64 v[28:29], v[36:37], v[34:35]
	;; [unrolled: 1-line block ×6, first 2 shown]
	v_fma_f64 v[20:21], v[122:123], s[24:25], -v[18:19]
	v_add_f64 v[4:5], v[12:13], v[8:9]
	v_mul_f64 v[12:13], v[138:139], s[6:7]
	v_add_f64 v[6:7], v[14:15], v[10:11]
	v_mul_f64 v[14:15], v[132:133], s[30:31]
	v_fma_f64 v[8:9], v[136:137], s[0:1], v[12:13]
	v_fma_f64 v[12:13], v[136:137], s[0:1], -v[12:13]
	v_fma_f64 v[10:11], v[120:121], s[24:25], v[14:15]
	v_fma_f64 v[14:15], v[120:121], s[24:25], -v[14:15]
	v_add_f64 v[8:9], v[2:3], v[8:9]
	v_add_f64 v[12:13], v[2:3], v[12:13]
	;; [unrolled: 1-line block ×3, first 2 shown]
	v_fma_f64 v[10:11], v[134:135], s[0:1], -v[16:17]
	v_add_f64 v[12:13], v[14:15], v[12:13]
	v_fma_f64 v[14:15], v[134:135], s[0:1], v[16:17]
	v_fma_f64 v[16:17], v[122:123], s[24:25], v[18:19]
	;; [unrolled: 1-line block ×3, first 2 shown]
	v_add_f64 v[10:11], v[0:1], v[10:11]
	v_add_f64 v[14:15], v[0:1], v[14:15]
	;; [unrolled: 1-line block ×3, first 2 shown]
	v_mul_f64 v[20:21], v[128:129], s[16:17]
	v_add_f64 v[14:15], v[16:17], v[14:15]
	v_fma_f64 v[22:23], v[110:111], s[4:5], v[20:21]
	v_fma_f64 v[16:17], v[110:111], s[4:5], -v[20:21]
	v_mul_f64 v[20:21], v[138:139], s[16:17]
	v_add_f64 v[8:9], v[22:23], v[8:9]
	v_mul_f64 v[22:23], v[124:125], s[16:17]
	v_add_f64 v[12:13], v[16:17], v[12:13]
	v_fma_f64 v[24:25], v[106:107], s[4:5], -v[22:23]
	v_fma_f64 v[16:17], v[106:107], s[4:5], v[22:23]
	v_mul_f64 v[22:23], v[132:133], s[36:37]
	v_add_f64 v[10:11], v[24:25], v[10:11]
	v_mul_f64 v[24:25], v[126:127], s[40:41]
	v_add_f64 v[14:15], v[16:17], v[14:15]
	v_fma_f64 v[26:27], v[102:103], s[14:15], v[24:25]
	v_fma_f64 v[16:17], v[102:103], s[14:15], -v[24:25]
	v_mul_f64 v[24:25], v[140:141], s[16:17]
	v_add_f64 v[8:9], v[26:27], v[8:9]
	v_mul_f64 v[26:27], v[116:117], s[40:41]
	v_add_f64 v[12:13], v[16:17], v[12:13]
	v_fma_f64 v[28:29], v[100:101], s[14:15], -v[26:27]
	v_fma_f64 v[16:17], v[100:101], s[14:15], v[26:27]
	v_mul_f64 v[26:27], v[130:131], s[36:37]
	v_add_f64 v[10:11], v[28:29], v[10:11]
	v_mul_f64 v[28:29], v[118:119], s[22:23]
	v_add_f64 v[14:15], v[16:17], v[14:15]
	v_fma_f64 v[30:31], v[98:99], s[8:9], v[28:29]
	v_fma_f64 v[16:17], v[98:99], s[8:9], -v[28:29]
	v_fma_f64 v[28:29], v[122:123], s[20:21], -v[26:27]
	v_add_f64 v[8:9], v[30:31], v[8:9]
	v_mul_f64 v[30:31], v[112:113], s[22:23]
	v_add_f64 v[12:13], v[16:17], v[12:13]
	v_fma_f64 v[32:33], v[96:97], s[8:9], -v[30:31]
	v_fma_f64 v[16:17], v[96:97], s[8:9], v[30:31]
	v_add_f64 v[10:11], v[32:33], v[10:11]
	v_mul_f64 v[32:33], v[114:115], s[36:37]
	v_add_f64 v[14:15], v[16:17], v[14:15]
	v_fma_f64 v[34:35], v[92:93], s[20:21], v[32:33]
	v_fma_f64 v[16:17], v[92:93], s[20:21], -v[32:33]
	v_add_f64 v[8:9], v[34:35], v[8:9]
	v_mul_f64 v[34:35], v[104:105], s[36:37]
	v_add_f64 v[12:13], v[16:17], v[12:13]
	v_fma_f64 v[36:37], v[90:91], s[20:21], -v[34:35]
	v_fma_f64 v[16:17], v[90:91], s[20:21], v[34:35]
	v_add_f64 v[10:11], v[36:37], v[10:11]
	v_mul_f64 v[36:37], v[108:109], s[28:29]
	v_add_f64 v[14:15], v[16:17], v[14:15]
	v_fma_f64 v[38:39], v[88:89], s[18:19], v[36:37]
	v_fma_f64 v[16:17], v[88:89], s[18:19], -v[36:37]
	v_add_f64 v[8:9], v[38:39], v[8:9]
	v_mul_f64 v[38:39], v[66:67], s[28:29]
	v_add_f64 v[12:13], v[16:17], v[12:13]
	v_fma_f64 v[16:17], v[86:87], s[18:19], v[38:39]
	v_fma_f64 v[40:41], v[86:87], s[18:19], -v[38:39]
	v_add_f64 v[16:17], v[16:17], v[14:15]
	v_fma_f64 v[14:15], v[84:85], s[26:27], -v[42:43]
	v_add_f64 v[40:41], v[40:41], v[10:11]
	v_fma_f64 v[10:11], v[84:85], s[26:27], v[42:43]
	v_add_f64 v[14:15], v[14:15], v[12:13]
	v_add_f64 v[12:13], v[18:19], v[16:17]
	v_fma_f64 v[16:17], v[136:137], s[4:5], v[20:21]
	v_fma_f64 v[18:19], v[120:121], s[20:21], v[22:23]
	v_fma_f64 v[20:21], v[136:137], s[4:5], -v[20:21]
	v_fma_f64 v[22:23], v[120:121], s[20:21], -v[22:23]
	v_add_f64 v[10:11], v[10:11], v[8:9]
	v_fma_f64 v[8:9], v[82:83], s[26:27], -v[44:45]
	v_add_f64 v[16:17], v[2:3], v[16:17]
	v_add_f64 v[20:21], v[2:3], v[20:21]
	;; [unrolled: 1-line block ×4, first 2 shown]
	v_fma_f64 v[18:19], v[134:135], s[4:5], -v[24:25]
	v_add_f64 v[20:21], v[22:23], v[20:21]
	v_fma_f64 v[22:23], v[134:135], s[4:5], v[24:25]
	v_fma_f64 v[24:25], v[122:123], s[20:21], v[26:27]
	;; [unrolled: 1-line block ×3, first 2 shown]
	v_add_f64 v[18:19], v[0:1], v[18:19]
	v_add_f64 v[22:23], v[0:1], v[22:23]
	;; [unrolled: 1-line block ×3, first 2 shown]
	v_mul_f64 v[28:29], v[128:129], s[34:35]
	v_add_f64 v[22:23], v[24:25], v[22:23]
	v_fma_f64 v[30:31], v[110:111], s[26:27], v[28:29]
	v_fma_f64 v[24:25], v[110:111], s[26:27], -v[28:29]
	v_mul_f64 v[28:29], v[138:139], s[22:23]
	v_add_f64 v[16:17], v[30:31], v[16:17]
	v_mul_f64 v[30:31], v[124:125], s[34:35]
	v_add_f64 v[20:21], v[24:25], v[20:21]
	v_fma_f64 v[32:33], v[106:107], s[26:27], -v[30:31]
	v_fma_f64 v[24:25], v[106:107], s[26:27], v[30:31]
	v_mul_f64 v[30:31], v[132:133], s[44:45]
	v_add_f64 v[18:19], v[32:33], v[18:19]
	v_mul_f64 v[32:33], v[126:127], s[50:51]
	v_add_f64 v[22:23], v[24:25], v[22:23]
	v_fma_f64 v[34:35], v[102:103], s[8:9], v[32:33]
	v_fma_f64 v[24:25], v[102:103], s[8:9], -v[32:33]
	v_mul_f64 v[32:33], v[140:141], s[22:23]
	v_add_f64 v[16:17], v[34:35], v[16:17]
	v_mul_f64 v[34:35], v[116:117], s[50:51]
	v_add_f64 v[20:21], v[24:25], v[20:21]
	v_fma_f64 v[36:37], v[100:101], s[8:9], -v[34:35]
	v_fma_f64 v[24:25], v[100:101], s[8:9], v[34:35]
	v_mul_f64 v[34:35], v[130:131], s[44:45]
	v_add_f64 v[18:19], v[36:37], v[18:19]
	v_mul_f64 v[36:37], v[118:119], s[38:39]
	v_add_f64 v[22:23], v[24:25], v[22:23]
	v_fma_f64 v[38:39], v[98:99], s[24:25], v[36:37]
	v_fma_f64 v[24:25], v[98:99], s[24:25], -v[36:37]
	v_fma_f64 v[36:37], v[122:123], s[18:19], -v[34:35]
	v_add_f64 v[16:17], v[38:39], v[16:17]
	v_mul_f64 v[38:39], v[112:113], s[38:39]
	v_add_f64 v[20:21], v[24:25], v[20:21]
	v_fma_f64 v[40:41], v[96:97], s[24:25], -v[38:39]
	v_fma_f64 v[24:25], v[96:97], s[24:25], v[38:39]
	v_add_f64 v[18:19], v[40:41], v[18:19]
	v_mul_f64 v[40:41], v[114:115], s[6:7]
	v_add_f64 v[22:23], v[24:25], v[22:23]
	v_fma_f64 v[42:43], v[92:93], s[0:1], v[40:41]
	v_fma_f64 v[24:25], v[92:93], s[0:1], -v[40:41]
	v_add_f64 v[16:17], v[42:43], v[16:17]
	v_mul_f64 v[42:43], v[104:105], s[6:7]
	v_add_f64 v[20:21], v[24:25], v[20:21]
	v_fma_f64 v[44:45], v[90:91], s[0:1], -v[42:43]
	v_fma_f64 v[24:25], v[90:91], s[0:1], v[42:43]
	v_add_f64 v[18:19], v[44:45], v[18:19]
	v_mul_f64 v[44:45], v[108:109], s[40:41]
	v_add_f64 v[22:23], v[24:25], v[22:23]
	v_fma_f64 v[46:47], v[88:89], s[14:15], v[44:45]
	v_fma_f64 v[24:25], v[88:89], s[14:15], -v[44:45]
	v_add_f64 v[16:17], v[46:47], v[16:17]
	v_mul_f64 v[46:47], v[66:67], s[40:41]
	v_add_f64 v[20:21], v[24:25], v[20:21]
	v_fma_f64 v[24:25], v[86:87], s[14:15], v[46:47]
	v_fma_f64 v[48:49], v[86:87], s[14:15], -v[46:47]
	v_add_f64 v[24:25], v[24:25], v[22:23]
	v_fma_f64 v[22:23], v[84:85], s[18:19], -v[50:51]
	v_add_f64 v[48:49], v[48:49], v[18:19]
	v_fma_f64 v[18:19], v[84:85], s[18:19], v[50:51]
	v_add_f64 v[22:23], v[22:23], v[20:21]
	v_add_f64 v[20:21], v[26:27], v[24:25]
	v_fma_f64 v[24:25], v[136:137], s[8:9], v[28:29]
	v_fma_f64 v[26:27], v[120:121], s[18:19], v[30:31]
	v_add_f64 v[18:19], v[18:19], v[16:17]
	v_fma_f64 v[16:17], v[82:83], s[18:19], -v[52:53]
	v_fma_f64 v[28:29], v[136:137], s[8:9], -v[28:29]
	;; [unrolled: 1-line block ×3, first 2 shown]
	v_add_f64 v[24:25], v[2:3], v[24:25]
	v_add_f64 v[16:17], v[16:17], v[48:49]
	v_add_f64 v[28:29], v[2:3], v[28:29]
	v_add_f64 v[24:25], v[26:27], v[24:25]
	v_fma_f64 v[26:27], v[134:135], s[8:9], -v[32:33]
	v_add_f64 v[28:29], v[30:31], v[28:29]
	v_add_f64 v[26:27], v[0:1], v[26:27]
	;; [unrolled: 1-line block ×3, first 2 shown]
	v_mul_f64 v[36:37], v[128:129], s[38:39]
	v_fma_f64 v[38:39], v[110:111], s[24:25], v[36:37]
	v_fma_f64 v[30:31], v[110:111], s[24:25], -v[36:37]
	v_mul_f64 v[36:37], v[138:139], s[28:29]
	v_add_f64 v[24:25], v[38:39], v[24:25]
	v_mul_f64 v[38:39], v[124:125], s[38:39]
	v_add_f64 v[28:29], v[30:31], v[28:29]
	v_fma_f64 v[40:41], v[106:107], s[24:25], -v[38:39]
	v_add_f64 v[26:27], v[40:41], v[26:27]
	v_mul_f64 v[40:41], v[126:127], s[16:17]
	v_fma_f64 v[42:43], v[102:103], s[4:5], v[40:41]
	v_fma_f64 v[30:31], v[102:103], s[4:5], -v[40:41]
	v_mul_f64 v[40:41], v[128:129], s[40:41]
	v_add_f64 v[24:25], v[42:43], v[24:25]
	v_mul_f64 v[42:43], v[116:117], s[16:17]
	v_add_f64 v[28:29], v[30:31], v[28:29]
	v_fma_f64 v[44:45], v[100:101], s[4:5], -v[42:43]
	v_add_f64 v[26:27], v[44:45], v[26:27]
	;; [unrolled: 9-line block ×4, first 2 shown]
	v_mul_f64 v[52:53], v[108:109], s[6:7]
	v_fma_f64 v[30:31], v[88:89], s[0:1], -v[52:53]
	v_fma_f64 v[54:55], v[88:89], s[0:1], v[52:53]
	v_mul_f64 v[52:53], v[130:131], s[48:49]
	v_add_f64 v[28:29], v[30:31], v[28:29]
	v_fma_f64 v[30:31], v[134:135], s[8:9], v[32:33]
	v_fma_f64 v[32:33], v[122:123], s[18:19], v[34:35]
	v_add_f64 v[24:25], v[54:55], v[24:25]
	v_mul_f64 v[54:55], v[66:67], s[6:7]
	v_fma_f64 v[34:35], v[82:83], s[20:21], v[60:61]
	v_add_f64 v[30:31], v[0:1], v[30:31]
	v_fma_f64 v[56:57], v[86:87], s[0:1], -v[54:55]
	v_add_f64 v[30:31], v[32:33], v[30:31]
	v_fma_f64 v[32:33], v[106:107], s[24:25], v[38:39]
	v_mul_f64 v[38:39], v[132:133], s[48:49]
	v_add_f64 v[56:57], v[56:57], v[26:27]
	v_fma_f64 v[26:27], v[84:85], s[20:21], v[58:59]
	v_add_f64 v[30:31], v[32:33], v[30:31]
	v_fma_f64 v[32:33], v[100:101], s[4:5], v[42:43]
	v_mul_f64 v[42:43], v[126:127], s[46:47]
	v_add_f64 v[26:27], v[26:27], v[24:25]
	v_fma_f64 v[24:25], v[82:83], s[20:21], -v[60:61]
	v_add_f64 v[30:31], v[32:33], v[30:31]
	v_fma_f64 v[32:33], v[96:97], s[26:27], v[46:47]
	v_mul_f64 v[46:47], v[114:115], s[52:53]
	v_add_f64 v[24:25], v[24:25], v[56:57]
	v_add_f64 v[30:31], v[32:33], v[30:31]
	v_fma_f64 v[32:33], v[90:91], s[14:15], v[50:51]
	v_mul_f64 v[50:51], v[140:141], s[28:29]
	v_add_f64 v[30:31], v[32:33], v[30:31]
	v_fma_f64 v[32:33], v[86:87], s[0:1], v[54:55]
	v_fma_f64 v[54:55], v[122:123], s[4:5], -v[52:53]
	v_add_f64 v[32:33], v[32:33], v[30:31]
	v_fma_f64 v[30:31], v[84:85], s[20:21], -v[58:59]
	v_add_f64 v[30:31], v[30:31], v[28:29]
	v_add_f64 v[28:29], v[34:35], v[32:33]
	v_fma_f64 v[32:33], v[136:137], s[18:19], v[36:37]
	v_fma_f64 v[34:35], v[120:121], s[4:5], v[38:39]
	v_fma_f64 v[36:37], v[136:137], s[18:19], -v[36:37]
	v_fma_f64 v[38:39], v[120:121], s[4:5], -v[38:39]
	v_add_f64 v[32:33], v[2:3], v[32:33]
	v_add_f64 v[36:37], v[2:3], v[36:37]
	;; [unrolled: 1-line block ×3, first 2 shown]
	v_fma_f64 v[34:35], v[110:111], s[14:15], v[40:41]
	v_add_f64 v[36:37], v[38:39], v[36:37]
	v_fma_f64 v[38:39], v[110:111], s[14:15], -v[40:41]
	v_fma_f64 v[40:41], v[122:123], s[4:5], v[52:53]
	v_mul_f64 v[52:53], v[118:119], s[46:47]
	v_add_f64 v[32:33], v[34:35], v[32:33]
	v_fma_f64 v[34:35], v[102:103], s[20:21], v[42:43]
	v_add_f64 v[36:37], v[38:39], v[36:37]
	v_fma_f64 v[38:39], v[102:103], s[20:21], -v[42:43]
	v_fma_f64 v[42:43], v[82:83], s[8:9], v[146:147]
	v_add_f64 v[32:33], v[34:35], v[32:33]
	v_fma_f64 v[34:35], v[98:99], s[0:1], v[44:45]
	v_add_f64 v[36:37], v[38:39], v[36:37]
	v_fma_f64 v[38:39], v[98:99], s[0:1], -v[44:45]
	v_mul_f64 v[44:45], v[138:139], s[34:35]
	v_add_f64 v[32:33], v[34:35], v[32:33]
	v_fma_f64 v[34:35], v[92:93], s[26:27], v[46:47]
	v_add_f64 v[36:37], v[38:39], v[36:37]
	v_fma_f64 v[38:39], v[92:93], s[26:27], -v[46:47]
	v_mul_f64 v[46:47], v[132:133], s[6:7]
	;; [unrolled: 5-line block ×3, first 2 shown]
	v_add_f64 v[32:33], v[34:35], v[32:33]
	v_fma_f64 v[34:35], v[134:135], s[18:19], -v[50:51]
	v_add_f64 v[36:37], v[38:39], v[36:37]
	v_fma_f64 v[38:39], v[134:135], s[18:19], v[50:51]
	v_mul_f64 v[50:51], v[126:127], s[30:31]
	v_add_f64 v[34:35], v[0:1], v[34:35]
	v_add_f64 v[38:39], v[0:1], v[38:39]
	;; [unrolled: 1-line block ×3, first 2 shown]
	v_mul_f64 v[54:55], v[124:125], s[40:41]
	v_add_f64 v[38:39], v[40:41], v[38:39]
	v_fma_f64 v[56:57], v[106:107], s[14:15], -v[54:55]
	v_fma_f64 v[40:41], v[106:107], s[14:15], v[54:55]
	v_mul_f64 v[54:55], v[114:115], s[16:17]
	v_add_f64 v[34:35], v[56:57], v[34:35]
	v_mul_f64 v[56:57], v[116:117], s[46:47]
	v_add_f64 v[38:39], v[40:41], v[38:39]
	v_fma_f64 v[58:59], v[100:101], s[20:21], -v[56:57]
	v_fma_f64 v[40:41], v[100:101], s[20:21], v[56:57]
	v_mul_f64 v[56:57], v[108:109], s[50:51]
	v_add_f64 v[34:35], v[58:59], v[34:35]
	;; [unrolled: 6-line block ×4, first 2 shown]
	v_mul_f64 v[62:63], v[66:67], s[38:39]
	v_add_f64 v[38:39], v[40:41], v[38:39]
	v_fma_f64 v[40:41], v[86:87], s[24:25], v[62:63]
	v_fma_f64 v[142:143], v[86:87], s[24:25], -v[62:63]
	v_fma_f64 v[62:63], v[122:123], s[0:1], -v[60:61]
	v_add_f64 v[40:41], v[40:41], v[38:39]
	v_fma_f64 v[38:39], v[84:85], s[8:9], -v[144:145]
	v_add_f64 v[142:143], v[142:143], v[34:35]
	v_fma_f64 v[34:35], v[84:85], s[8:9], v[144:145]
	v_add_f64 v[38:39], v[38:39], v[36:37]
	v_add_f64 v[36:37], v[42:43], v[40:41]
	v_fma_f64 v[40:41], v[136:137], s[26:27], v[44:45]
	v_fma_f64 v[42:43], v[120:121], s[0:1], v[46:47]
	v_fma_f64 v[44:45], v[136:137], s[26:27], -v[44:45]
	v_fma_f64 v[46:47], v[120:121], s[0:1], -v[46:47]
	v_add_f64 v[34:35], v[34:35], v[32:33]
	v_fma_f64 v[32:33], v[82:83], s[8:9], -v[146:147]
	v_add_f64 v[40:41], v[2:3], v[40:41]
	v_add_f64 v[44:45], v[2:3], v[44:45]
	;; [unrolled: 1-line block ×4, first 2 shown]
	v_fma_f64 v[42:43], v[110:111], s[18:19], v[48:49]
	v_add_f64 v[44:45], v[46:47], v[44:45]
	v_fma_f64 v[46:47], v[110:111], s[18:19], -v[48:49]
	v_fma_f64 v[48:49], v[122:123], s[0:1], v[60:61]
	v_mul_f64 v[60:61], v[118:119], s[40:41]
	v_add_f64 v[40:41], v[42:43], v[40:41]
	v_fma_f64 v[42:43], v[102:103], s[24:25], v[50:51]
	v_add_f64 v[44:45], v[46:47], v[44:45]
	v_fma_f64 v[46:47], v[102:103], s[24:25], -v[50:51]
	v_add_f64 v[40:41], v[42:43], v[40:41]
	v_fma_f64 v[42:43], v[98:99], s[20:21], v[52:53]
	v_add_f64 v[44:45], v[46:47], v[44:45]
	v_fma_f64 v[46:47], v[98:99], s[20:21], -v[52:53]
	v_fma_f64 v[52:53], v[82:83], s[14:15], v[154:155]
	v_add_f64 v[40:41], v[42:43], v[40:41]
	v_fma_f64 v[42:43], v[92:93], s[4:5], v[54:55]
	v_add_f64 v[44:45], v[46:47], v[44:45]
	v_fma_f64 v[46:47], v[92:93], s[4:5], -v[54:55]
	v_mul_f64 v[54:55], v[132:133], s[22:23]
	v_add_f64 v[40:41], v[42:43], v[40:41]
	v_fma_f64 v[42:43], v[88:89], s[8:9], v[56:57]
	v_add_f64 v[44:45], v[46:47], v[44:45]
	v_fma_f64 v[46:47], v[88:89], s[8:9], -v[56:57]
	v_add_f64 v[40:41], v[42:43], v[40:41]
	v_fma_f64 v[42:43], v[134:135], s[26:27], -v[58:59]
	v_add_f64 v[44:45], v[46:47], v[44:45]
	v_fma_f64 v[46:47], v[134:135], s[26:27], v[58:59]
	v_mul_f64 v[58:59], v[126:127], s[44:45]
	v_add_f64 v[42:43], v[0:1], v[42:43]
	v_add_f64 v[46:47], v[0:1], v[46:47]
	;; [unrolled: 1-line block ×3, first 2 shown]
	v_mul_f64 v[62:63], v[124:125], s[44:45]
	v_add_f64 v[46:47], v[48:49], v[46:47]
	v_fma_f64 v[142:143], v[106:107], s[18:19], -v[62:63]
	v_fma_f64 v[48:49], v[106:107], s[18:19], v[62:63]
	v_mul_f64 v[62:63], v[114:115], s[38:39]
	v_add_f64 v[42:43], v[142:143], v[42:43]
	v_mul_f64 v[142:143], v[116:117], s[30:31]
	v_add_f64 v[46:47], v[48:49], v[46:47]
	v_fma_f64 v[144:145], v[100:101], s[24:25], -v[142:143]
	v_fma_f64 v[48:49], v[100:101], s[24:25], v[142:143]
	v_mul_f64 v[142:143], v[108:109], s[34:35]
	v_add_f64 v[42:43], v[144:145], v[42:43]
	;; [unrolled: 6-line block ×4, first 2 shown]
	v_mul_f64 v[148:149], v[66:67], s[50:51]
	v_add_f64 v[46:47], v[48:49], v[46:47]
	s_mov_b32 s51, 0x3fc7851a
	s_mov_b32 s50, s6
	v_mul_f64 v[56:57], v[128:129], s[50:51]
	v_fma_f64 v[48:49], v[86:87], s[8:9], v[148:149]
	v_fma_f64 v[150:151], v[86:87], s[8:9], -v[148:149]
	v_fma_f64 v[148:149], v[122:123], s[8:9], -v[146:147]
	v_add_f64 v[46:47], v[48:49], v[46:47]
	v_fma_f64 v[48:49], v[84:85], s[14:15], -v[152:153]
	v_add_f64 v[150:151], v[150:151], v[42:43]
	v_fma_f64 v[42:43], v[84:85], s[14:15], v[152:153]
	v_add_f64 v[50:51], v[48:49], v[44:45]
	v_add_f64 v[48:49], v[52:53], v[46:47]
	v_mul_f64 v[52:53], v[138:139], s[46:47]
	v_fma_f64 v[46:47], v[120:121], s[8:9], v[54:55]
	v_fma_f64 v[54:55], v[120:121], s[8:9], -v[54:55]
	v_add_f64 v[42:43], v[42:43], v[40:41]
	v_fma_f64 v[40:41], v[82:83], s[14:15], -v[154:155]
	v_fma_f64 v[44:45], v[136:137], s[20:21], v[52:53]
	v_fma_f64 v[52:53], v[136:137], s[20:21], -v[52:53]
	v_add_f64 v[40:41], v[40:41], v[150:151]
	v_add_f64 v[44:45], v[2:3], v[44:45]
	;; [unrolled: 1-line block ×4, first 2 shown]
	v_fma_f64 v[46:47], v[110:111], s[0:1], v[56:57]
	v_add_f64 v[52:53], v[54:55], v[52:53]
	v_fma_f64 v[54:55], v[110:111], s[0:1], -v[56:57]
	v_fma_f64 v[56:57], v[122:123], s[8:9], v[146:147]
	v_mul_f64 v[146:147], v[118:119], s[48:49]
	v_mul_f64 v[118:119], v[118:119], s[28:29]
	v_add_f64 v[44:45], v[46:47], v[44:45]
	v_fma_f64 v[46:47], v[102:103], s[18:19], v[58:59]
	v_add_f64 v[52:53], v[54:55], v[52:53]
	v_fma_f64 v[54:55], v[102:103], s[18:19], -v[58:59]
	v_add_f64 v[44:45], v[46:47], v[44:45]
	v_fma_f64 v[46:47], v[98:99], s[14:15], v[60:61]
	v_add_f64 v[52:53], v[54:55], v[52:53]
	v_fma_f64 v[54:55], v[98:99], s[14:15], -v[60:61]
	v_fma_f64 v[60:61], v[82:83], s[4:5], v[162:163]
	v_add_f64 v[44:45], v[46:47], v[44:45]
	v_fma_f64 v[46:47], v[92:93], s[24:25], v[62:63]
	v_add_f64 v[52:53], v[54:55], v[52:53]
	v_fma_f64 v[54:55], v[92:93], s[24:25], -v[62:63]
	v_mul_f64 v[62:63], v[132:133], s[34:35]
	v_mul_f64 v[132:133], v[132:133], s[42:43]
	v_add_f64 v[44:45], v[46:47], v[44:45]
	v_fma_f64 v[46:47], v[88:89], s[26:27], v[142:143]
	v_add_f64 v[52:53], v[54:55], v[52:53]
	v_fma_f64 v[54:55], v[88:89], s[26:27], -v[142:143]
	v_mul_f64 v[142:143], v[128:129], s[22:23]
	v_mul_f64 v[128:129], v[128:129], s[46:47]
	v_add_f64 v[44:45], v[46:47], v[44:45]
	v_fma_f64 v[46:47], v[134:135], s[20:21], -v[144:145]
	v_add_f64 v[52:53], v[54:55], v[52:53]
	v_fma_f64 v[54:55], v[134:135], s[20:21], v[144:145]
	v_mul_f64 v[144:145], v[126:127], s[6:7]
	v_mul_f64 v[126:127], v[126:127], s[34:35]
	v_add_f64 v[46:47], v[0:1], v[46:47]
	v_add_f64 v[54:55], v[0:1], v[54:55]
	v_add_f64 v[46:47], v[148:149], v[46:47]
	v_mul_f64 v[148:149], v[124:125], s[50:51]
	v_add_f64 v[54:55], v[56:57], v[54:55]
	v_fma_f64 v[150:151], v[106:107], s[0:1], -v[148:149]
	v_fma_f64 v[56:57], v[106:107], s[0:1], v[148:149]
	v_mul_f64 v[148:149], v[114:115], s[44:45]
	v_mul_f64 v[114:115], v[114:115], s[22:23]
	v_add_f64 v[46:47], v[150:151], v[46:47]
	v_mul_f64 v[150:151], v[116:117], s[44:45]
	v_add_f64 v[54:55], v[56:57], v[54:55]
	v_fma_f64 v[152:153], v[100:101], s[18:19], -v[150:151]
	v_fma_f64 v[56:57], v[100:101], s[18:19], v[150:151]
	v_mul_f64 v[150:151], v[108:109], s[36:37]
	v_mul_f64 v[108:109], v[108:109], s[16:17]
	v_add_f64 v[46:47], v[152:153], v[46:47]
	v_mul_f64 v[152:153], v[112:113], s[40:41]
	v_add_f64 v[54:55], v[56:57], v[54:55]
	v_fma_f64 v[154:155], v[96:97], s[14:15], -v[152:153]
	v_fma_f64 v[56:57], v[96:97], s[14:15], v[152:153]
	v_mul_f64 v[152:153], v[140:141], s[42:43]
	v_add_f64 v[46:47], v[154:155], v[46:47]
	v_mul_f64 v[154:155], v[104:105], s[38:39]
	v_add_f64 v[54:55], v[56:57], v[54:55]
	v_fma_f64 v[156:157], v[90:91], s[24:25], -v[154:155]
	v_fma_f64 v[56:57], v[90:91], s[24:25], v[154:155]
	v_mul_f64 v[154:155], v[130:131], s[34:35]
	v_mul_f64 v[130:131], v[130:131], s[42:43]
	v_add_f64 v[46:47], v[156:157], v[46:47]
	v_mul_f64 v[156:157], v[66:67], s[34:35]
	v_add_f64 v[54:55], v[56:57], v[54:55]
	v_fma_f64 v[56:57], v[86:87], s[26:27], v[156:157]
	v_fma_f64 v[158:159], v[86:87], s[26:27], -v[156:157]
	v_fma_f64 v[156:157], v[122:123], s[26:27], -v[154:155]
	v_add_f64 v[54:55], v[56:57], v[54:55]
	v_fma_f64 v[56:57], v[84:85], s[4:5], -v[160:161]
	v_add_f64 v[158:159], v[158:159], v[46:47]
	v_fma_f64 v[46:47], v[84:85], s[4:5], v[160:161]
	v_add_f64 v[58:59], v[56:57], v[52:53]
	v_add_f64 v[56:57], v[60:61], v[54:55]
	v_mul_f64 v[60:61], v[138:139], s[42:43]
	v_fma_f64 v[54:55], v[120:121], s[26:27], v[62:63]
	v_fma_f64 v[62:63], v[120:121], s[26:27], -v[62:63]
	v_add_f64 v[46:47], v[46:47], v[44:45]
	v_fma_f64 v[44:45], v[82:83], s[4:5], -v[162:163]
	v_mul_f64 v[138:139], v[138:139], s[38:39]
	v_fma_f64 v[52:53], v[136:137], s[14:15], v[60:61]
	v_fma_f64 v[60:61], v[136:137], s[14:15], -v[60:61]
	v_add_f64 v[44:45], v[44:45], v[158:159]
	v_add_f64 v[52:53], v[2:3], v[52:53]
	v_add_f64 v[60:61], v[2:3], v[60:61]
	v_add_f64 v[52:53], v[54:55], v[52:53]
	v_fma_f64 v[54:55], v[110:111], s[8:9], v[142:143]
	v_add_f64 v[60:61], v[62:63], v[60:61]
	v_fma_f64 v[62:63], v[110:111], s[8:9], -v[142:143]
	v_fma_f64 v[142:143], v[122:123], s[26:27], v[154:155]
	v_add_f64 v[52:53], v[54:55], v[52:53]
	v_fma_f64 v[54:55], v[102:103], s[0:1], v[144:145]
	v_add_f64 v[60:61], v[62:63], v[60:61]
	v_fma_f64 v[62:63], v[102:103], s[0:1], -v[144:145]
	v_fma_f64 v[144:145], v[82:83], s[24:25], v[170:171]
	v_add_f64 v[52:53], v[54:55], v[52:53]
	v_fma_f64 v[54:55], v[98:99], s[4:5], v[146:147]
	v_add_f64 v[60:61], v[62:63], v[60:61]
	v_fma_f64 v[62:63], v[98:99], s[4:5], -v[146:147]
	v_add_f64 v[52:53], v[54:55], v[52:53]
	v_fma_f64 v[54:55], v[92:93], s[18:19], v[148:149]
	v_add_f64 v[60:61], v[62:63], v[60:61]
	v_fma_f64 v[62:63], v[92:93], s[18:19], -v[148:149]
	;; [unrolled: 4-line block ×3, first 2 shown]
	v_add_f64 v[52:53], v[54:55], v[52:53]
	v_fma_f64 v[54:55], v[134:135], s[14:15], -v[152:153]
	v_add_f64 v[60:61], v[62:63], v[60:61]
	v_fma_f64 v[62:63], v[134:135], s[14:15], v[152:153]
	v_add_f64 v[54:55], v[0:1], v[54:55]
	v_add_f64 v[62:63], v[0:1], v[62:63]
	;; [unrolled: 1-line block ×3, first 2 shown]
	v_mul_f64 v[156:157], v[124:125], s[22:23]
	v_add_f64 v[62:63], v[142:143], v[62:63]
	v_mul_f64 v[124:125], v[124:125], s[46:47]
	v_fma_f64 v[158:159], v[106:107], s[8:9], -v[156:157]
	v_fma_f64 v[142:143], v[106:107], s[8:9], v[156:157]
	v_add_f64 v[54:55], v[158:159], v[54:55]
	v_mul_f64 v[158:159], v[116:117], s[6:7]
	v_add_f64 v[62:63], v[142:143], v[62:63]
	v_mul_f64 v[116:117], v[116:117], s[34:35]
	v_fma_f64 v[160:161], v[100:101], s[0:1], -v[158:159]
	v_fma_f64 v[142:143], v[100:101], s[0:1], v[158:159]
	v_add_f64 v[54:55], v[160:161], v[54:55]
	v_mul_f64 v[160:161], v[112:113], s[48:49]
	v_add_f64 v[62:63], v[142:143], v[62:63]
	v_mul_f64 v[112:113], v[112:113], s[28:29]
	v_fma_f64 v[162:163], v[96:97], s[4:5], -v[160:161]
	v_fma_f64 v[142:143], v[96:97], s[4:5], v[160:161]
	v_add_f64 v[54:55], v[162:163], v[54:55]
	v_mul_f64 v[162:163], v[104:105], s[44:45]
	v_add_f64 v[62:63], v[142:143], v[62:63]
	v_mul_f64 v[104:105], v[104:105], s[22:23]
	v_fma_f64 v[164:165], v[90:91], s[18:19], -v[162:163]
	v_fma_f64 v[142:143], v[90:91], s[18:19], v[162:163]
	v_add_f64 v[54:55], v[164:165], v[54:55]
	v_mul_f64 v[164:165], v[66:67], s[36:37]
	v_add_f64 v[62:63], v[142:143], v[62:63]
	v_fma_f64 v[142:143], v[86:87], s[20:21], v[164:165]
	v_fma_f64 v[166:167], v[86:87], s[20:21], -v[164:165]
	v_add_f64 v[142:143], v[142:143], v[62:63]
	v_fma_f64 v[62:63], v[84:85], s[24:25], -v[168:169]
	v_add_f64 v[166:167], v[166:167], v[54:55]
	v_fma_f64 v[54:55], v[84:85], s[24:25], v[168:169]
	v_add_f64 v[62:63], v[62:63], v[60:61]
	v_add_f64 v[60:61], v[144:145], v[142:143]
	v_fma_f64 v[142:143], v[136:137], s[24:25], v[138:139]
	v_fma_f64 v[136:137], v[136:137], s[24:25], -v[138:139]
	v_mul_f64 v[138:139], v[140:141], s[38:39]
	v_add_f64 v[54:55], v[54:55], v[52:53]
	v_fma_f64 v[52:53], v[82:83], s[24:25], -v[170:171]
	v_fma_f64 v[140:141], v[134:135], s[24:25], -v[138:139]
	v_fma_f64 v[134:135], v[134:135], s[24:25], v[138:139]
	v_add_f64 v[138:139], v[2:3], v[142:143]
	v_add_f64 v[2:3], v[2:3], v[136:137]
	v_mul_f64 v[136:137], v[64:65], s[6:7]
	v_fma_f64 v[64:65], v[84:85], s[0:1], -v[94:95]
	v_fma_f64 v[84:85], v[84:85], s[0:1], v[94:95]
	v_add_f64 v[52:53], v[52:53], v[166:167]
	v_add_f64 v[140:141], v[0:1], v[140:141]
	;; [unrolled: 1-line block ×3, first 2 shown]
	v_fma_f64 v[134:135], v[120:121], s[14:15], -v[132:133]
	v_add_f64 v[2:3], v[134:135], v[2:3]
	v_fma_f64 v[134:135], v[110:111], s[20:21], -v[128:129]
	v_fma_f64 v[110:111], v[110:111], s[20:21], v[128:129]
	v_add_f64 v[2:3], v[134:135], v[2:3]
	v_fma_f64 v[134:135], v[102:103], s[26:27], -v[126:127]
	v_fma_f64 v[102:103], v[102:103], s[26:27], v[126:127]
	;; [unrolled: 3-line block ×5, first 2 shown]
	v_add_f64 v[2:3], v[134:135], v[2:3]
	v_fma_f64 v[134:135], v[122:123], s[14:15], v[130:131]
	v_add_f64 v[0:1], v[134:135], v[0:1]
	v_fma_f64 v[134:135], v[106:107], s[20:21], v[124:125]
	v_fma_f64 v[106:107], v[106:107], s[20:21], -v[124:125]
	v_add_f64 v[0:1], v[134:135], v[0:1]
	v_fma_f64 v[134:135], v[100:101], s[26:27], v[116:117]
	v_fma_f64 v[100:101], v[100:101], s[26:27], -v[116:117]
	;; [unrolled: 3-line block ×4, first 2 shown]
	v_add_f64 v[0:1], v[134:135], v[0:1]
	v_mul_f64 v[134:135], v[66:67], s[16:17]
	v_fma_f64 v[66:67], v[86:87], s[4:5], v[134:135]
	v_fma_f64 v[86:87], v[86:87], s[4:5], -v[134:135]
	v_add_f64 v[0:1], v[66:67], v[0:1]
	v_add_f64 v[66:67], v[64:65], v[2:3]
	v_fma_f64 v[2:3], v[82:83], s[0:1], v[136:137]
	v_fma_f64 v[82:83], v[82:83], s[0:1], -v[136:137]
	v_add_f64 v[64:65], v[2:3], v[0:1]
	v_fma_f64 v[0:1], v[120:121], s[14:15], v[132:133]
	v_fma_f64 v[2:3], v[122:123], s[14:15], -v[130:131]
	v_add_f64 v[0:1], v[0:1], v[138:139]
	v_add_f64 v[2:3], v[2:3], v[140:141]
	;; [unrolled: 1-line block ×14, first 2 shown]
	ds_write_b128 v80, v[4:7]
	ds_write_b128 v80, v[64:67] offset:16
	ds_write_b128 v80, v[60:63] offset:32
	;; [unrolled: 1-line block ×16, first 2 shown]
.LBB0_21:
	s_or_b32 exec_lo, exec_lo, s33
	v_and_b32_e32 v2, 0xff, v70
	v_mov_b32_e32 v0, 0xf0f1
	s_waitcnt lgkmcnt(0)
	s_barrier
	buffer_gl0_inv
	v_mul_lo_u16 v1, 0xf1, v2
	v_mul_u32_u24_sdwa v3, v81, v0 dst_sel:DWORD dst_unused:UNUSED_PAD src0_sel:WORD_0 src1_sel:DWORD
	v_mul_u32_u24_sdwa v5, v76, v0 dst_sel:DWORD dst_unused:UNUSED_PAD src0_sel:WORD_0 src1_sel:DWORD
	v_mul_u32_u24_sdwa v0, v77, v0 dst_sel:DWORD dst_unused:UNUSED_PAD src0_sel:WORD_0 src1_sel:DWORD
	s_mov_b32 s4, 0xe8584caa
	v_lshrrev_b16 v4, 12, v1
	v_lshrrev_b32_e32 v8, 20, v3
	v_lshrrev_b32_e32 v67, 20, v5
	v_mov_b32_e32 v1, 5
	v_lshrrev_b32_e32 v120, 20, v0
	v_mul_lo_u16 v3, v4, 17
	v_mul_lo_u16 v5, v8, 17
	;; [unrolled: 1-line block ×3, first 2 shown]
	s_mov_b32 s5, 0xbfebb67a
	s_mov_b32 s7, 0x3febb67a
	v_sub_nc_u16 v80, v70, v3
	v_sub_nc_u16 v121, v81, v5
	v_mul_lo_u16 v5, v120, 17
	v_sub_nc_u16 v122, v76, v0
	s_mov_b32 s6, s4
	v_lshlrev_b32_sdwa v3, v1, v80 dst_sel:DWORD dst_unused:UNUSED_PAD src0_sel:DWORD src1_sel:BYTE_0
	v_lshlrev_b32_sdwa v0, v1, v121 dst_sel:DWORD dst_unused:UNUSED_PAD src0_sel:DWORD src1_sel:WORD_0
	v_mul_lo_u16 v2, 0xa1, v2
	v_mov_b32_e32 v123, 0x330
	v_mul_u32_u24_e32 v67, 0x330, v67
	s_clause 0x1
	global_load_dwordx4 v[9:12], v3, s[12:13]
	global_load_dwordx4 v[13:16], v3, s[12:13] offset:16
	v_sub_nc_u16 v3, v77, v5
	v_lshlrev_b32_sdwa v5, v1, v122 dst_sel:DWORD dst_unused:UNUSED_PAD src0_sel:DWORD src1_sel:WORD_0
	s_clause 0x1
	global_load_dwordx4 v[17:20], v0, s[12:13]
	global_load_dwordx4 v[21:24], v0, s[12:13] offset:16
	v_mul_u32_u24_sdwa v123, v4, v123 dst_sel:DWORD dst_unused:UNUSED_PAD src0_sel:WORD_0 src1_sel:DWORD
	v_lshlrev_b32_sdwa v0, v1, v3 dst_sel:DWORD dst_unused:UNUSED_PAD src0_sel:DWORD src1_sel:WORD_0
	s_clause 0x3
	global_load_dwordx4 v[25:28], v5, s[12:13]
	global_load_dwordx4 v[29:32], v5, s[12:13] offset:16
	global_load_dwordx4 v[33:36], v0, s[12:13]
	global_load_dwordx4 v[37:40], v0, s[12:13] offset:16
	ds_read_b128 v[41:44], v71 offset:9792
	ds_read_b128 v[45:48], v71 offset:19584
	ds_read_b128 v[49:52], v71
	ds_read_b128 v[53:56], v71 offset:2448
	ds_read_b128 v[57:60], v71 offset:12240
	;; [unrolled: 1-line block ×9, first 2 shown]
	v_mov_b32_e32 v5, 0xa0a1
	v_mov_b32_e32 v0, 4
	s_waitcnt vmcnt(0) lgkmcnt(0)
	s_barrier
	buffer_gl0_inv
	v_mul_u32_u24_sdwa v6, v81, v5 dst_sel:DWORD dst_unused:UNUSED_PAD src0_sel:WORD_0 src1_sel:DWORD
	v_mul_u32_u24_sdwa v7, v76, v5 dst_sel:DWORD dst_unused:UNUSED_PAD src0_sel:WORD_0 src1_sel:DWORD
	;; [unrolled: 1-line block ×3, first 2 shown]
	v_lshrrev_b16 v5, 13, v2
	v_lshlrev_b32_sdwa v3, v0, v3 dst_sel:DWORD dst_unused:UNUSED_PAD src0_sel:DWORD src1_sel:WORD_0
	v_lshrrev_b32_e32 v6, 21, v6
	v_lshrrev_b32_e32 v7, 21, v7
	;; [unrolled: 1-line block ×3, first 2 shown]
	v_mul_lo_u16 v4, v5, 51
	v_sub_nc_u16 v4, v70, v4
	v_mul_f64 v[65:66], v[43:44], v[11:12]
	v_mul_f64 v[106:107], v[47:48], v[15:16]
	v_mul_f64 v[11:12], v[41:42], v[11:12]
	v_mul_f64 v[15:16], v[45:46], v[15:16]
	v_mul_f64 v[108:109], v[59:60], v[19:20]
	v_mul_f64 v[110:111], v[63:64], v[23:24]
	v_mul_f64 v[19:20], v[57:58], v[19:20]
	v_mul_f64 v[23:24], v[61:62], v[23:24]
	v_mul_f64 v[112:113], v[92:93], v[27:28]
	v_mul_f64 v[114:115], v[100:101], v[31:32]
	v_mul_f64 v[27:28], v[90:91], v[27:28]
	v_mul_f64 v[31:32], v[98:99], v[31:32]
	v_mul_f64 v[116:117], v[96:97], v[35:36]
	v_mul_f64 v[118:119], v[104:105], v[39:40]
	v_mul_f64 v[35:36], v[94:95], v[35:36]
	v_mul_f64 v[39:40], v[102:103], v[39:40]
	v_fma_f64 v[41:42], v[41:42], v[9:10], v[65:66]
	v_fma_f64 v[45:46], v[45:46], v[13:14], v[106:107]
	v_fma_f64 v[9:10], v[43:44], v[9:10], -v[11:12]
	v_fma_f64 v[11:12], v[47:48], v[13:14], -v[15:16]
	v_fma_f64 v[13:14], v[57:58], v[17:18], v[108:109]
	v_fma_f64 v[15:16], v[61:62], v[21:22], v[110:111]
	v_fma_f64 v[17:18], v[59:60], v[17:18], -v[19:20]
	v_fma_f64 v[19:20], v[63:64], v[21:22], -v[23:24]
	;; [unrolled: 4-line block ×4, first 2 shown]
	v_mul_u32_u24_e32 v104, 0x330, v8
	v_mul_lo_u16 v8, v6, 51
	v_lshlrev_b32_sdwa v107, v0, v80 dst_sel:DWORD dst_unused:UNUSED_PAD src0_sel:DWORD src1_sel:BYTE_0
	v_lshlrev_b32_sdwa v108, v0, v121 dst_sel:DWORD dst_unused:UNUSED_PAD src0_sel:DWORD src1_sel:WORD_0
	v_mul_u32_u24_e32 v105, 0x330, v120
	v_lshlrev_b32_sdwa v109, v0, v122 dst_sel:DWORD dst_unused:UNUSED_PAD src0_sel:DWORD src1_sel:WORD_0
	v_add_f64 v[59:60], v[49:50], v[41:42]
	v_add_f64 v[37:38], v[41:42], v[45:46]
	v_sub_nc_u16 v8, v81, v8
	v_add_f64 v[39:40], v[9:10], v[11:12]
	v_add_f64 v[80:81], v[51:52], v[9:10]
	;; [unrolled: 1-line block ×3, first 2 shown]
	v_add_f64 v[63:64], v[9:10], -v[11:12]
	v_add_f64 v[47:48], v[17:18], v[19:20]
	v_add_f64 v[41:42], v[41:42], -v[45:46]
	v_add_f64 v[57:58], v[21:22], v[23:24]
	v_add_f64 v[92:93], v[53:54], v[13:14]
	;; [unrolled: 1-line block ×10, first 2 shown]
	v_mul_lo_u16 v106, v7, 51
	v_add3_u32 v3, 0, v105, v3
	v_add_f64 v[9:10], v[59:60], v[45:46]
	v_fma_f64 v[37:38], v[37:38], -0.5, v[49:50]
	v_add_f64 v[49:50], v[17:18], -v[19:20]
	v_fma_f64 v[39:40], v[39:40], -0.5, v[51:52]
	v_add_f64 v[51:52], v[13:14], -v[15:16]
	;; [unrolled: 2-line block ×6, first 2 shown]
	v_fma_f64 v[65:66], v[65:66], -0.5, v[86:87]
	v_add_f64 v[11:12], v[80:81], v[11:12]
	v_fma_f64 v[59:60], v[90:91], -0.5, v[88:89]
	v_add_f64 v[13:14], v[92:93], v[15:16]
	v_add_f64 v[15:16], v[94:95], v[19:20]
	;; [unrolled: 1-line block ×6, first 2 shown]
	v_mul_u32_u24_e32 v80, 0x990, v2
	v_fma_f64 v[25:26], v[63:64], s[4:5], v[37:38]
	v_fma_f64 v[29:30], v[63:64], s[6:7], v[37:38]
	;; [unrolled: 1-line block ×16, first 2 shown]
	v_add3_u32 v59, 0, v123, v107
	v_add3_u32 v60, 0, v104, v108
	v_lshlrev_b32_sdwa v57, v1, v4 dst_sel:DWORD dst_unused:UNUSED_PAD src0_sel:DWORD src1_sel:BYTE_0
	v_add3_u32 v61, 0, v67, v109
	v_lshlrev_b32_sdwa v58, v1, v8 dst_sel:DWORD dst_unused:UNUSED_PAD src0_sel:DWORD src1_sel:WORD_0
	ds_write_b128 v59, v[9:12]
	ds_write_b128 v59, v[25:28] offset:272
	ds_write_b128 v59, v[29:32] offset:544
	ds_write_b128 v60, v[13:16]
	ds_write_b128 v60, v[33:36] offset:272
	ds_write_b128 v60, v[37:40] offset:544
	;; [unrolled: 3-line block ×4, first 2 shown]
	v_mul_lo_u16 v3, v2, 51
	v_sub_nc_u16 v49, v76, v106
	s_waitcnt lgkmcnt(0)
	s_barrier
	buffer_gl0_inv
	s_clause 0x1
	global_load_dwordx4 v[9:12], v57, s[12:13] offset:560
	global_load_dwordx4 v[13:16], v57, s[12:13] offset:544
	v_sub_nc_u16 v3, v77, v3
	s_clause 0x1
	global_load_dwordx4 v[17:20], v58, s[12:13] offset:544
	global_load_dwordx4 v[21:24], v58, s[12:13] offset:560
	v_lshlrev_b32_sdwa v29, v1, v49 dst_sel:DWORD dst_unused:UNUSED_PAD src0_sel:DWORD src1_sel:WORD_0
	v_mov_b32_e32 v41, 0x358b
	v_add_co_u32 v42, s0, s12, v74
	v_lshlrev_b32_sdwa v1, v1, v3 dst_sel:DWORD dst_unused:UNUSED_PAD src0_sel:DWORD src1_sel:WORD_0
	s_clause 0x3
	global_load_dwordx4 v[25:28], v29, s[12:13] offset:544
	global_load_dwordx4 v[29:32], v29, s[12:13] offset:560
	;; [unrolled: 1-line block ×4, first 2 shown]
	v_add_co_ci_u32_e64 v43, s0, s13, v75, s0
	v_mul_u32_u24_sdwa v44, v76, v41 dst_sel:DWORD dst_unused:UNUSED_PAD src0_sel:WORD_0 src1_sel:DWORD
	v_mul_u32_u24_sdwa v45, v77, v41 dst_sel:DWORD dst_unused:UNUSED_PAD src0_sel:WORD_0 src1_sel:DWORD
	;; [unrolled: 1-line block ×4, first 2 shown]
	v_add_co_u32 v65, s0, 0x800, v42
	v_mov_b32_e32 v1, 0x990
	v_add_co_ci_u32_e64 v66, s0, 0, v43, s0
	v_lshrrev_b32_e32 v42, 21, v44
	v_lshrrev_b32_e32 v43, 21, v45
	;; [unrolled: 1-line block ×4, first 2 shown]
	v_mul_u32_u24_sdwa v57, v5, v1 dst_sel:DWORD dst_unused:UNUSED_PAD src0_sel:WORD_0 src1_sel:DWORD
	v_mul_u32_u24_e32 v61, 0x990, v6
	v_mul_u32_u24_e32 v67, 0x990, v7
	v_mul_lo_u16 v5, 0x99, v43
	v_mul_lo_u16 v6, 0x99, v44
	;; [unrolled: 1-line block ×4, first 2 shown]
	ds_read_b128 v[41:44], v71 offset:9792
	ds_read_b128 v[45:48], v71 offset:12240
	v_sub_nc_u16 v2, v77, v5
	v_sub_nc_u16 v53, v78, v6
	;; [unrolled: 1-line block ×3, first 2 shown]
	v_lshlrev_b32_sdwa v58, v0, v4 dst_sel:DWORD dst_unused:UNUSED_PAD src0_sel:DWORD src1_sel:BYTE_0
	ds_read_b128 v[4:7], v71 offset:19584
	v_sub_nc_u16 v1, v76, v1
	v_lshlrev_b32_sdwa v74, v0, v49 dst_sel:DWORD dst_unused:UNUSED_PAD src0_sel:DWORD src1_sel:WORD_0
	ds_read_b128 v[49:52], v71 offset:22032
	v_lshlrev_b32_sdwa v8, v0, v8 dst_sel:DWORD dst_unused:UNUSED_PAD src0_sel:DWORD src1_sel:WORD_0
	v_lshlrev_b32_sdwa v78, v0, v3 dst_sel:DWORD dst_unused:UNUSED_PAD src0_sel:DWORD src1_sel:WORD_0
	;; [unrolled: 1-line block ×6, first 2 shown]
	ds_read_b128 v[53:56], v71 offset:14688
	v_add3_u32 v104, 0, v57, v58
	ds_read_b128 v[57:60], v71 offset:24480
	v_add3_u32 v105, 0, v61, v8
	ds_read_b128 v[61:64], v71 offset:17136
	v_add3_u32 v67, 0, v67, v74
	ds_read_b128 v[74:77], v71 offset:26928
	v_add3_u32 v106, 0, v80, v78
	v_add_co_u32 v94, s0, s12, v1
	v_add_co_ci_u32_e64 v95, null, s13, 0, s0
	v_add_co_u32 v107, s0, s12, v2
	v_add_co_ci_u32_e64 v108, null, s13, 0, s0
	;; [unrolled: 2-line block ×4, first 2 shown]
	v_add_nc_u32_e32 v1, 0, v1
	v_add_nc_u32_e32 v2, 0, v2
	;; [unrolled: 1-line block ×4, first 2 shown]
	s_waitcnt vmcnt(7) lgkmcnt(5)
	v_mul_f64 v[80:81], v[6:7], v[11:12]
	s_waitcnt vmcnt(6)
	v_mul_f64 v[78:79], v[43:44], v[15:16]
	v_mul_f64 v[15:16], v[41:42], v[15:16]
	;; [unrolled: 1-line block ×3, first 2 shown]
	s_waitcnt vmcnt(5)
	v_mul_f64 v[82:83], v[47:48], v[19:20]
	v_mul_f64 v[19:20], v[45:46], v[19:20]
	s_waitcnt vmcnt(4) lgkmcnt(4)
	v_mul_f64 v[84:85], v[51:52], v[23:24]
	v_mul_f64 v[23:24], v[49:50], v[23:24]
	s_waitcnt vmcnt(3) lgkmcnt(3)
	;; [unrolled: 3-line block ×5, first 2 shown]
	v_mul_f64 v[92:93], v[76:77], v[39:40]
	v_mul_f64 v[39:40], v[74:75], v[39:40]
	v_fma_f64 v[41:42], v[41:42], v[13:14], v[78:79]
	v_fma_f64 v[43:44], v[43:44], v[13:14], -v[15:16]
	v_fma_f64 v[78:79], v[4:5], v[9:10], v[80:81]
	v_fma_f64 v[80:81], v[6:7], v[9:10], -v[11:12]
	;; [unrolled: 2-line block ×6, first 2 shown]
	v_fma_f64 v[30:31], v[61:62], v[33:34], v[90:91]
	v_fma_f64 v[51:52], v[74:75], v[37:38], v[92:93]
	v_fma_f64 v[32:33], v[63:64], v[33:34], -v[35:36]
	v_fma_f64 v[34:35], v[76:77], v[37:38], -v[39:40]
	ds_read_b128 v[4:7], v71
	ds_read_b128 v[8:11], v71 offset:2448
	ds_read_b128 v[12:15], v71 offset:4896
	;; [unrolled: 1-line block ×3, first 2 shown]
	v_add_co_u32 v57, s0, 0x800, v94
	v_add_co_ci_u32_e64 v58, s0, 0, v95, s0
	s_waitcnt lgkmcnt(0)
	v_add_f64 v[36:37], v[41:42], v[78:79]
	v_add_f64 v[38:39], v[43:44], v[80:81]
	v_add_f64 v[74:75], v[43:44], -v[80:81]
	s_barrier
	v_add_f64 v[53:54], v[45:46], v[49:50]
	v_add_f64 v[55:56], v[47:48], v[20:21]
	buffer_gl0_inv
	v_add_f64 v[59:60], v[22:23], v[26:27]
	v_add_f64 v[63:64], v[24:25], v[28:29]
	v_add_f64 v[96:97], v[24:25], -v[28:29]
	v_add_f64 v[76:77], v[30:31], v[51:52]
	v_add_f64 v[61:62], v[4:5], v[41:42]
	;; [unrolled: 1-line block ×4, first 2 shown]
	v_add_f64 v[40:41], v[41:42], -v[78:79]
	v_add_f64 v[86:87], v[10:11], v[47:48]
	v_add_f64 v[88:89], v[12:13], v[22:23]
	;; [unrolled: 1-line block ×4, first 2 shown]
	v_add_f64 v[47:48], v[47:48], -v[20:21]
	v_add_f64 v[45:46], v[45:46], -v[49:50]
	v_fma_f64 v[36:37], v[36:37], -0.5, v[4:5]
	v_fma_f64 v[38:39], v[38:39], -0.5, v[6:7]
	v_add_f64 v[94:95], v[18:19], v[32:33]
	v_add_f64 v[98:99], v[22:23], -v[26:27]
	v_fma_f64 v[53:54], v[53:54], -0.5, v[8:9]
	v_fma_f64 v[55:56], v[55:56], -0.5, v[10:11]
	v_add_f64 v[92:93], v[16:17], v[30:31]
	v_add_f64 v[100:101], v[32:33], -v[34:35]
	v_fma_f64 v[59:60], v[59:60], -0.5, v[12:13]
	v_fma_f64 v[63:64], v[63:64], -0.5, v[14:15]
	v_add_f64 v[102:103], v[30:31], -v[51:52]
	v_fma_f64 v[76:77], v[76:77], -0.5, v[16:17]
	v_add_f64 v[4:5], v[61:62], v[78:79]
	v_fma_f64 v[61:62], v[82:83], -0.5, v[18:19]
	v_add_f64 v[6:7], v[43:44], v[80:81]
	v_add_f64 v[10:11], v[86:87], v[20:21]
	v_add_f64 v[12:13], v[88:89], v[26:27]
	v_add_f64 v[8:9], v[84:85], v[49:50]
	v_add_f64 v[14:15], v[90:91], v[28:29]
	v_fma_f64 v[20:21], v[74:75], s[4:5], v[36:37]
	v_fma_f64 v[22:23], v[40:41], s[6:7], v[38:39]
	;; [unrolled: 1-line block ×6, first 2 shown]
	v_add_f64 v[18:19], v[94:95], v[34:35]
	v_fma_f64 v[32:33], v[47:48], s[6:7], v[53:54]
	v_fma_f64 v[34:35], v[45:46], s[4:5], v[55:56]
	;; [unrolled: 1-line block ×6, first 2 shown]
	v_add_f64 v[16:17], v[92:93], v[51:52]
	v_fma_f64 v[44:45], v[100:101], s[4:5], v[76:77]
	v_fma_f64 v[46:47], v[102:103], s[6:7], v[61:62]
	;; [unrolled: 1-line block ×4, first 2 shown]
	v_add_co_u32 v52, s0, 0x800, v107
	v_add_co_ci_u32_e64 v53, s0, 0, v108, s0
	v_add_co_u32 v54, s0, 0x800, v109
	v_add_co_ci_u32_e64 v55, s0, 0, v110, s0
	ds_write_b128 v104, v[4:7]
	ds_write_b128 v104, v[20:23] offset:816
	ds_write_b128 v104, v[24:27] offset:1632
	ds_write_b128 v105, v[8:11]
	ds_write_b128 v105, v[28:31] offset:816
	ds_write_b128 v105, v[32:35] offset:1632
	;; [unrolled: 3-line block ×4, first 2 shown]
	s_waitcnt lgkmcnt(0)
	s_barrier
	buffer_gl0_inv
	s_clause 0x1
	global_load_dwordx4 v[4:7], v[65:66], off offset:128
	global_load_dwordx4 v[8:11], v[57:58], off offset:128
	v_add_co_u32 v20, s0, 0x800, v111
	v_add_co_ci_u32_e64 v21, s0, 0, v112, s0
	s_clause 0x2
	global_load_dwordx4 v[12:15], v[52:53], off offset:128
	global_load_dwordx4 v[16:19], v[54:55], off offset:128
	;; [unrolled: 1-line block ×3, first 2 shown]
	ds_read_b128 v[24:27], v71 offset:14688
	ds_read_b128 v[28:31], v71 offset:17136
	;; [unrolled: 1-line block ×6, first 2 shown]
	ds_read_b128 v[48:51], v71
	ds_read_b128 v[52:55], v71 offset:2448
	ds_read_b128 v[56:59], v71 offset:4896
	;; [unrolled: 1-line block ×3, first 2 shown]
	s_waitcnt vmcnt(4) lgkmcnt(9)
	v_mul_f64 v[64:65], v[26:27], v[6:7]
	v_mul_f64 v[66:67], v[24:25], v[6:7]
	s_waitcnt lgkmcnt(8)
	v_mul_f64 v[74:75], v[30:31], v[6:7]
	v_mul_f64 v[6:7], v[28:29], v[6:7]
	s_waitcnt vmcnt(3) lgkmcnt(7)
	v_mul_f64 v[76:77], v[34:35], v[10:11]
	v_mul_f64 v[10:11], v[32:33], v[10:11]
	s_waitcnt vmcnt(2) lgkmcnt(6)
	;; [unrolled: 3-line block ×4, first 2 shown]
	v_mul_f64 v[82:83], v[46:47], v[22:23]
	v_mul_f64 v[22:23], v[44:45], v[22:23]
	v_fma_f64 v[24:25], v[24:25], v[4:5], v[64:65]
	v_fma_f64 v[26:27], v[26:27], v[4:5], -v[66:67]
	v_fma_f64 v[28:29], v[28:29], v[4:5], v[74:75]
	v_fma_f64 v[30:31], v[30:31], v[4:5], -v[6:7]
	;; [unrolled: 2-line block ×5, first 2 shown]
	v_fma_f64 v[44:45], v[44:45], v[20:21], v[82:83]
	ds_read_b128 v[4:7], v71 offset:9792
	ds_read_b128 v[8:11], v71 offset:12240
	v_fma_f64 v[46:47], v[46:47], v[20:21], -v[22:23]
	v_mul_u32_u24_e32 v12, 5, v70
	s_waitcnt lgkmcnt(0)
	s_barrier
	buffer_gl0_inv
	v_lshlrev_b32_e32 v64, 4, v12
	v_add_f64 v[12:13], v[48:49], -v[24:25]
	v_add_f64 v[14:15], v[50:51], -v[26:27]
	;; [unrolled: 1-line block ×8, first 2 shown]
	v_add_co_u32 v74, s0, s12, v64
	v_add_f64 v[28:29], v[4:5], -v[40:41]
	v_add_f64 v[30:31], v[6:7], -v[42:43]
	;; [unrolled: 1-line block ×4, first 2 shown]
	v_add_co_ci_u32_e64 v75, null, s13, 0, s0
	v_add_co_u32 v64, s0, 0x1210, v74
	v_add_co_ci_u32_e64 v65, s0, 0, v75, s0
	v_add_co_u32 v66, s0, 0x1000, v74
	v_fma_f64 v[36:37], v[48:49], 2.0, -v[12:13]
	v_fma_f64 v[38:39], v[50:51], 2.0, -v[14:15]
	v_fma_f64 v[40:41], v[52:53], 2.0, -v[16:17]
	v_fma_f64 v[42:43], v[54:55], 2.0, -v[18:19]
	v_fma_f64 v[44:45], v[56:57], 2.0, -v[20:21]
	v_fma_f64 v[46:47], v[58:59], 2.0, -v[22:23]
	v_fma_f64 v[48:49], v[60:61], 2.0, -v[24:25]
	v_fma_f64 v[50:51], v[62:63], 2.0, -v[26:27]
	v_add_co_ci_u32_e64 v67, s0, 0, v75, s0
	v_fma_f64 v[4:5], v[4:5], 2.0, -v[28:29]
	v_fma_f64 v[6:7], v[6:7], 2.0, -v[30:31]
	;; [unrolled: 1-line block ×4, first 2 shown]
	ds_write_b128 v71, v[12:15] offset:2448
	ds_write_b128 v71, v[16:19] offset:7344
	ds_write_b128 v71, v[36:39]
	ds_write_b128 v71, v[40:43] offset:4896
	ds_write_b128 v1, v[44:47] offset:9792
	ds_write_b128 v1, v[20:23] offset:12240
	ds_write_b128 v2, v[48:51] offset:14688
	ds_write_b128 v2, v[24:27] offset:17136
	ds_write_b128 v3, v[4:7] offset:19584
	ds_write_b128 v3, v[28:31] offset:22032
	ds_write_b128 v0, v[8:11] offset:24480
	ds_write_b128 v0, v[32:35] offset:26928
	s_waitcnt lgkmcnt(0)
	s_barrier
	buffer_gl0_inv
	s_clause 0x1
	global_load_dwordx4 v[0:3], v[64:65], off offset:32
	global_load_dwordx4 v[4:7], v[66:67], off offset:592
	v_add_co_u32 v52, s0, 0x41e0, v74
	v_add_co_ci_u32_e64 v53, s0, 0, v75, s0
	v_add_co_u32 v20, s0, 0x4000, v74
	v_add_co_ci_u32_e64 v21, s0, 0, v75, s0
	s_clause 0x7
	global_load_dwordx4 v[8:11], v[52:53], off offset:32
	global_load_dwordx4 v[12:15], v[20:21], off offset:544
	global_load_dwordx4 v[16:19], v[66:67], off offset:528
	global_load_dwordx4 v[20:23], v[20:21], off offset:480
	global_load_dwordx4 v[24:27], v[64:65], off offset:16
	global_load_dwordx4 v[28:31], v[64:65], off offset:48
	global_load_dwordx4 v[32:35], v[52:53], off offset:16
	global_load_dwordx4 v[36:39], v[52:53], off offset:48
	ds_read_b128 v[40:43], v71 offset:14688
	ds_read_b128 v[44:47], v71 offset:24480
	;; [unrolled: 1-line block ×8, first 2 shown]
	s_waitcnt vmcnt(9) lgkmcnt(7)
	v_mul_f64 v[78:79], v[40:41], v[2:3]
	s_waitcnt vmcnt(8) lgkmcnt(6)
	v_mul_f64 v[80:81], v[44:45], v[6:7]
	v_mul_f64 v[2:3], v[42:43], v[2:3]
	;; [unrolled: 1-line block ×3, first 2 shown]
	s_waitcnt vmcnt(7) lgkmcnt(5)
	v_mul_f64 v[86:87], v[48:49], v[10:11]
	s_waitcnt vmcnt(6) lgkmcnt(4)
	v_mul_f64 v[88:89], v[52:53], v[14:15]
	;; [unrolled: 2-line block ×4, first 2 shown]
	v_mul_f64 v[10:11], v[50:51], v[10:11]
	v_mul_f64 v[14:15], v[54:55], v[14:15]
	;; [unrolled: 1-line block ×4, first 2 shown]
	v_fma_f64 v[42:43], v[42:43], v[0:1], -v[78:79]
	v_fma_f64 v[46:47], v[46:47], v[4:5], -v[80:81]
	ds_read_b128 v[78:81], v71 offset:12240
	ds_read_b128 v[82:85], v71 offset:22032
	v_fma_f64 v[40:41], v[40:41], v[0:1], v[2:3]
	v_fma_f64 v[44:45], v[44:45], v[4:5], v[6:7]
	v_fma_f64 v[50:51], v[50:51], v[8:9], -v[86:87]
	v_fma_f64 v[54:55], v[54:55], v[12:13], -v[88:89]
	s_waitcnt vmcnt(3) lgkmcnt(3)
	v_mul_f64 v[86:87], v[66:67], v[26:27]
	v_mul_f64 v[26:27], v[64:65], v[26:27]
	s_waitcnt vmcnt(2) lgkmcnt(2)
	v_mul_f64 v[88:89], v[76:77], v[30:31]
	v_mul_f64 v[30:31], v[74:75], v[30:31]
	v_fma_f64 v[58:59], v[58:59], v[16:17], -v[90:91]
	v_fma_f64 v[8:9], v[48:49], v[8:9], v[10:11]
	v_fma_f64 v[10:11], v[52:53], v[12:13], v[14:15]
	v_fma_f64 v[12:13], v[62:63], v[20:21], -v[92:93]
	v_fma_f64 v[16:17], v[56:57], v[16:17], v[18:19]
	ds_read_b128 v[0:3], v71
	v_fma_f64 v[20:21], v[60:61], v[20:21], v[22:23]
	s_waitcnt vmcnt(1) lgkmcnt(2)
	v_mul_f64 v[6:7], v[80:81], v[34:35]
	v_mul_f64 v[34:35], v[78:79], v[34:35]
	v_add_f64 v[4:5], v[42:43], v[46:47]
	s_waitcnt vmcnt(0) lgkmcnt(1)
	v_mul_f64 v[90:91], v[84:85], v[38:39]
	v_mul_f64 v[38:39], v[82:83], v[38:39]
	v_add_f64 v[18:19], v[40:41], v[44:45]
	v_add_f64 v[14:15], v[50:51], v[54:55]
	v_fma_f64 v[48:49], v[64:65], v[24:25], v[86:87]
	v_fma_f64 v[24:25], v[66:67], v[24:25], -v[26:27]
	v_fma_f64 v[26:27], v[74:75], v[28:29], v[88:89]
	v_fma_f64 v[28:29], v[76:77], v[28:29], -v[30:31]
	v_add_f64 v[30:31], v[40:41], -v[44:45]
	v_add_f64 v[74:75], v[42:43], -v[46:47]
	v_add_f64 v[22:23], v[8:9], v[10:11]
	v_add_f64 v[42:43], v[58:59], v[42:43]
	v_fma_f64 v[56:57], v[78:79], v[32:33], v[6:7]
	v_fma_f64 v[32:33], v[80:81], v[32:33], -v[34:35]
	v_fma_f64 v[52:53], v[4:5], -0.5, v[58:59]
	ds_read_b128 v[4:7], v71 offset:2448
	v_fma_f64 v[34:35], v[82:83], v[36:37], v[90:91]
	v_fma_f64 v[36:37], v[84:85], v[36:37], -v[38:39]
	v_add_f64 v[38:39], v[8:9], -v[10:11]
	v_fma_f64 v[14:15], v[14:15], -0.5, v[12:13]
	s_waitcnt lgkmcnt(1)
	v_add_f64 v[60:61], v[0:1], v[48:49]
	v_add_f64 v[66:67], v[2:3], v[24:25]
	;; [unrolled: 1-line block ×3, first 2 shown]
	v_add_f64 v[64:65], v[24:25], -v[28:29]
	v_add_f64 v[24:25], v[24:25], v[28:29]
	v_fma_f64 v[18:19], v[18:19], -0.5, v[16:17]
	v_add_f64 v[16:17], v[16:17], v[40:41]
	v_add_f64 v[78:79], v[50:51], -v[54:55]
	v_fma_f64 v[22:23], v[22:23], -0.5, v[20:21]
	v_add_f64 v[8:9], v[20:21], v[8:9]
	v_add_f64 v[12:13], v[12:13], v[50:51]
	v_add_f64 v[48:49], v[48:49], -v[26:27]
	v_add_f64 v[42:43], v[42:43], v[46:47]
	s_waitcnt lgkmcnt(0)
	s_barrier
	buffer_gl0_inv
	v_fma_f64 v[76:77], v[30:31], s[6:7], v[52:53]
	v_fma_f64 v[30:31], v[30:31], s[4:5], v[52:53]
	v_add_f64 v[40:41], v[56:57], v[34:35]
	v_add_f64 v[52:53], v[32:33], v[36:37]
	v_add_f64 v[80:81], v[32:33], -v[36:37]
	v_fma_f64 v[58:59], v[38:39], s[6:7], v[14:15]
	v_fma_f64 v[14:15], v[38:39], s[4:5], v[14:15]
	v_add_f64 v[38:39], v[4:5], v[56:57]
	v_add_f64 v[32:33], v[6:7], v[32:33]
	;; [unrolled: 1-line block ×3, first 2 shown]
	v_fma_f64 v[0:1], v[62:63], -0.5, v[0:1]
	v_add_f64 v[26:27], v[66:67], v[28:29]
	v_fma_f64 v[2:3], v[24:25], -0.5, v[2:3]
	v_fma_f64 v[24:25], v[74:75], s[4:5], v[18:19]
	v_fma_f64 v[18:19], v[74:75], s[6:7], v[18:19]
	v_add_f64 v[56:57], v[56:57], -v[34:35]
	v_add_f64 v[16:17], v[16:17], v[44:45]
	v_mul_f64 v[28:29], v[76:77], s[4:5]
	v_mul_f64 v[60:61], v[76:77], 0.5
	v_mul_f64 v[50:51], v[30:31], s[4:5]
	v_mul_f64 v[30:31], v[30:31], -0.5
	v_fma_f64 v[4:5], v[40:41], -0.5, v[4:5]
	v_fma_f64 v[6:7], v[52:53], -0.5, v[6:7]
	v_fma_f64 v[40:41], v[78:79], s[4:5], v[22:23]
	v_mul_f64 v[52:53], v[58:59], s[4:5]
	v_mul_f64 v[58:59], v[58:59], 0.5
	v_fma_f64 v[22:23], v[78:79], s[6:7], v[22:23]
	v_mul_f64 v[62:63], v[14:15], s[4:5]
	v_mul_f64 v[14:15], v[14:15], -0.5
	v_add_f64 v[34:35], v[38:39], v[34:35]
	v_add_f64 v[32:33], v[32:33], v[36:37]
	;; [unrolled: 1-line block ×4, first 2 shown]
	v_fma_f64 v[44:45], v[64:65], s[4:5], v[0:1]
	v_fma_f64 v[54:55], v[48:49], s[6:7], v[2:3]
	;; [unrolled: 1-line block ×4, first 2 shown]
	v_add_f64 v[0:1], v[20:21], v[16:17]
	v_add_f64 v[2:3], v[26:27], v[42:43]
	v_fma_f64 v[28:29], v[24:25], 0.5, v[28:29]
	v_fma_f64 v[60:61], v[24:25], s[6:7], v[60:61]
	v_fma_f64 v[50:51], v[18:19], -0.5, v[50:51]
	v_fma_f64 v[30:31], v[18:19], s[6:7], v[30:31]
	v_fma_f64 v[64:65], v[80:81], s[4:5], v[4:5]
	;; [unrolled: 1-line block ×4, first 2 shown]
	v_fma_f64 v[52:53], v[40:41], 0.5, v[52:53]
	v_fma_f64 v[58:59], v[40:41], s[6:7], v[58:59]
	v_fma_f64 v[56:57], v[56:57], s[4:5], v[6:7]
	v_fma_f64 v[62:63], v[22:23], -0.5, v[62:63]
	v_fma_f64 v[76:77], v[22:23], s[6:7], v[14:15]
	v_add_f64 v[4:5], v[20:21], -v[16:17]
	v_add_f64 v[6:7], v[26:27], -v[42:43]
	v_add_f64 v[8:9], v[34:35], v[36:37]
	v_add_f64 v[10:11], v[32:33], v[38:39]
	v_add_f64 v[12:13], v[34:35], -v[36:37]
	v_add_f64 v[14:15], v[32:33], -v[38:39]
	v_add_f64 v[16:17], v[44:45], v[28:29]
	v_add_f64 v[18:19], v[54:55], v[60:61]
	;; [unrolled: 1-line block ×4, first 2 shown]
	v_add_f64 v[24:25], v[44:45], -v[28:29]
	v_add_f64 v[26:27], v[54:55], -v[60:61]
	;; [unrolled: 1-line block ×4, first 2 shown]
	v_add_f64 v[32:33], v[64:65], v[52:53]
	v_add_f64 v[34:35], v[74:75], v[58:59]
	;; [unrolled: 1-line block ×4, first 2 shown]
	v_add_f64 v[40:41], v[64:65], -v[52:53]
	v_add_f64 v[42:43], v[74:75], -v[58:59]
	;; [unrolled: 1-line block ×4, first 2 shown]
	ds_write_b128 v71, v[0:3]
	ds_write_b128 v71, v[4:7] offset:14688
	ds_write_b128 v71, v[8:11] offset:2448
	;; [unrolled: 1-line block ×11, first 2 shown]
	s_waitcnt lgkmcnt(0)
	s_barrier
	buffer_gl0_inv
	s_and_saveexec_b32 s0, vcc_lo
	s_cbranch_execz .LBB0_23
; %bb.22:
	v_mul_lo_u32 v2, s3, v72
	v_mul_lo_u32 v3, s2, v73
	v_mad_u64_u32 v[0:1], null, s2, v72, 0
	v_lshl_add_u32 v30, v70, 4, 0
	v_mov_b32_e32 v71, 0
	v_lshlrev_b64 v[8:9], 4, v[68:69]
	v_add_nc_u32_e32 v10, 0x99, v70
	v_add_nc_u32_e32 v13, 0x132, v70
	;; [unrolled: 1-line block ×3, first 2 shown]
	v_add3_u32 v1, v1, v3, v2
	v_lshlrev_b64 v[14:15], 4, v[70:71]
	v_mov_b32_e32 v17, v71
	v_mov_b32_e32 v29, v71
	v_lshlrev_b64 v[11:12], 4, v[0:1]
	ds_read_b128 v[0:3], v30
	ds_read_b128 v[4:7], v30 offset:2448
	v_add_co_u32 v16, vcc_lo, s10, v11
	v_add_co_ci_u32_e32 v12, vcc_lo, s11, v12, vcc_lo
	v_mov_b32_e32 v11, v71
	v_add_co_u32 v31, vcc_lo, v16, v8
	v_add_co_ci_u32_e32 v32, vcc_lo, v12, v9, vcc_lo
	v_lshlrev_b64 v[8:9], 4, v[10:11]
	v_add_co_u32 v10, vcc_lo, v31, v14
	v_add_co_ci_u32_e32 v11, vcc_lo, v32, v15, vcc_lo
	v_mov_b32_e32 v14, v71
	v_add_co_u32 v8, vcc_lo, v31, v8
	v_add_co_ci_u32_e32 v9, vcc_lo, v32, v9, vcc_lo
	v_add_nc_u32_e32 v15, 0x1cb, v70
	v_mov_b32_e32 v16, v71
	s_waitcnt lgkmcnt(1)
	global_store_dwordx4 v[10:11], v[0:3], off
	s_waitcnt lgkmcnt(0)
	global_store_dwordx4 v[8:9], v[4:7], off
	v_lshlrev_b64 v[12:13], 4, v[13:14]
	ds_read_b128 v[0:3], v30 offset:4896
	ds_read_b128 v[4:7], v30 offset:7344
	;; [unrolled: 1-line block ×3, first 2 shown]
	v_lshlrev_b64 v[14:15], 4, v[15:16]
	v_add_nc_u32_e32 v16, 0x264, v70
	v_add_co_u32 v20, vcc_lo, v31, v12
	v_add_co_ci_u32_e32 v21, vcc_lo, v32, v13, vcc_lo
	v_lshlrev_b64 v[12:13], 4, v[16:17]
	v_add_nc_u32_e32 v16, 0x2fd, v70
	v_add_co_u32 v22, vcc_lo, v31, v14
	v_add_co_ci_u32_e32 v23, vcc_lo, v32, v15, vcc_lo
	v_lshlrev_b64 v[26:27], 4, v[16:17]
	ds_read_b128 v[16:19], v30 offset:14688
	v_add_co_u32 v24, vcc_lo, v31, v12
	v_add_co_ci_u32_e32 v25, vcc_lo, v32, v13, vcc_lo
	ds_read_b128 v[12:15], v30 offset:12240
	s_waitcnt lgkmcnt(4)
	global_store_dwordx4 v[20:21], v[0:3], off
	s_waitcnt lgkmcnt(3)
	global_store_dwordx4 v[22:23], v[4:7], off
	;; [unrolled: 2-line block ×3, first 2 shown]
	v_lshlrev_b64 v[0:1], 4, v[28:29]
	v_add_co_u32 v2, vcc_lo, v31, v26
	v_add_co_ci_u32_e32 v3, vcc_lo, v32, v27, vcc_lo
	v_add_nc_u32_e32 v4, 0x42f, v70
	v_mov_b32_e32 v5, v71
	v_add_co_u32 v6, vcc_lo, v31, v0
	v_add_co_ci_u32_e32 v7, vcc_lo, v32, v1, vcc_lo
	v_add_nc_u32_e32 v8, 0x4c8, v70
	v_mov_b32_e32 v9, v71
	v_lshlrev_b64 v[4:5], 4, v[4:5]
	s_waitcnt lgkmcnt(1)
	global_store_dwordx4 v[6:7], v[16:19], off
	v_add_nc_u32_e32 v24, 0x5fa, v70
	v_mov_b32_e32 v25, v71
	v_lshlrev_b64 v[6:7], 4, v[8:9]
	s_waitcnt lgkmcnt(0)
	global_store_dwordx4 v[2:3], v[12:15], off
	v_add_co_u32 v20, vcc_lo, v31, v4
	v_add_nc_u32_e32 v12, 0x561, v70
	v_mov_b32_e32 v13, v71
	v_add_co_ci_u32_e32 v21, vcc_lo, v32, v5, vcc_lo
	v_add_co_u32 v22, vcc_lo, v31, v6
	ds_read_b128 v[0:3], v30 offset:17136
	v_add_co_ci_u32_e32 v23, vcc_lo, v32, v7, vcc_lo
	ds_read_b128 v[4:7], v30 offset:19584
	ds_read_b128 v[8:11], v30 offset:22032
	v_lshlrev_b64 v[26:27], 4, v[12:13]
	ds_read_b128 v[12:15], v30 offset:24480
	ds_read_b128 v[16:19], v30 offset:26928
	v_add_nc_u32_e32 v70, 0x693, v70
	v_lshlrev_b64 v[24:25], 4, v[24:25]
	v_add_co_u32 v26, vcc_lo, v31, v26
	v_lshlrev_b64 v[28:29], 4, v[70:71]
	v_add_co_ci_u32_e32 v27, vcc_lo, v32, v27, vcc_lo
	v_add_co_u32 v24, vcc_lo, v31, v24
	v_add_co_ci_u32_e32 v25, vcc_lo, v32, v25, vcc_lo
	v_add_co_u32 v28, vcc_lo, v31, v28
	v_add_co_ci_u32_e32 v29, vcc_lo, v32, v29, vcc_lo
	s_waitcnt lgkmcnt(4)
	global_store_dwordx4 v[20:21], v[0:3], off
	s_waitcnt lgkmcnt(3)
	global_store_dwordx4 v[22:23], v[4:7], off
	;; [unrolled: 2-line block ×5, first 2 shown]
.LBB0_23:
	s_endpgm
	.section	.rodata,"a",@progbits
	.p2align	6, 0x0
	.amdhsa_kernel fft_rtc_back_len1836_factors_17_3_3_2_6_wgs_153_tpt_153_halfLds_dp_op_CI_CI_unitstride_sbrr_C2R_dirReg
		.amdhsa_group_segment_fixed_size 0
		.amdhsa_private_segment_fixed_size 0
		.amdhsa_kernarg_size 104
		.amdhsa_user_sgpr_count 6
		.amdhsa_user_sgpr_private_segment_buffer 1
		.amdhsa_user_sgpr_dispatch_ptr 0
		.amdhsa_user_sgpr_queue_ptr 0
		.amdhsa_user_sgpr_kernarg_segment_ptr 1
		.amdhsa_user_sgpr_dispatch_id 0
		.amdhsa_user_sgpr_flat_scratch_init 0
		.amdhsa_user_sgpr_private_segment_size 0
		.amdhsa_wavefront_size32 1
		.amdhsa_uses_dynamic_stack 0
		.amdhsa_system_sgpr_private_segment_wavefront_offset 0
		.amdhsa_system_sgpr_workgroup_id_x 1
		.amdhsa_system_sgpr_workgroup_id_y 0
		.amdhsa_system_sgpr_workgroup_id_z 0
		.amdhsa_system_sgpr_workgroup_info 0
		.amdhsa_system_vgpr_workitem_id 0
		.amdhsa_next_free_vgpr 172
		.amdhsa_next_free_sgpr 54
		.amdhsa_reserve_vcc 1
		.amdhsa_reserve_flat_scratch 0
		.amdhsa_float_round_mode_32 0
		.amdhsa_float_round_mode_16_64 0
		.amdhsa_float_denorm_mode_32 3
		.amdhsa_float_denorm_mode_16_64 3
		.amdhsa_dx10_clamp 1
		.amdhsa_ieee_mode 1
		.amdhsa_fp16_overflow 0
		.amdhsa_workgroup_processor_mode 1
		.amdhsa_memory_ordered 1
		.amdhsa_forward_progress 0
		.amdhsa_shared_vgpr_count 0
		.amdhsa_exception_fp_ieee_invalid_op 0
		.amdhsa_exception_fp_denorm_src 0
		.amdhsa_exception_fp_ieee_div_zero 0
		.amdhsa_exception_fp_ieee_overflow 0
		.amdhsa_exception_fp_ieee_underflow 0
		.amdhsa_exception_fp_ieee_inexact 0
		.amdhsa_exception_int_div_zero 0
	.end_amdhsa_kernel
	.text
.Lfunc_end0:
	.size	fft_rtc_back_len1836_factors_17_3_3_2_6_wgs_153_tpt_153_halfLds_dp_op_CI_CI_unitstride_sbrr_C2R_dirReg, .Lfunc_end0-fft_rtc_back_len1836_factors_17_3_3_2_6_wgs_153_tpt_153_halfLds_dp_op_CI_CI_unitstride_sbrr_C2R_dirReg
                                        ; -- End function
	.section	.AMDGPU.csdata,"",@progbits
; Kernel info:
; codeLenInByte = 15372
; NumSgprs: 56
; NumVgprs: 172
; ScratchSize: 0
; MemoryBound: 0
; FloatMode: 240
; IeeeMode: 1
; LDSByteSize: 0 bytes/workgroup (compile time only)
; SGPRBlocks: 6
; VGPRBlocks: 21
; NumSGPRsForWavesPerEU: 56
; NumVGPRsForWavesPerEU: 172
; Occupancy: 5
; WaveLimiterHint : 1
; COMPUTE_PGM_RSRC2:SCRATCH_EN: 0
; COMPUTE_PGM_RSRC2:USER_SGPR: 6
; COMPUTE_PGM_RSRC2:TRAP_HANDLER: 0
; COMPUTE_PGM_RSRC2:TGID_X_EN: 1
; COMPUTE_PGM_RSRC2:TGID_Y_EN: 0
; COMPUTE_PGM_RSRC2:TGID_Z_EN: 0
; COMPUTE_PGM_RSRC2:TIDIG_COMP_CNT: 0
	.text
	.p2alignl 6, 3214868480
	.fill 48, 4, 3214868480
	.type	__hip_cuid_42d4179ece820ec9,@object ; @__hip_cuid_42d4179ece820ec9
	.section	.bss,"aw",@nobits
	.globl	__hip_cuid_42d4179ece820ec9
__hip_cuid_42d4179ece820ec9:
	.byte	0                               ; 0x0
	.size	__hip_cuid_42d4179ece820ec9, 1

	.ident	"AMD clang version 19.0.0git (https://github.com/RadeonOpenCompute/llvm-project roc-6.4.0 25133 c7fe45cf4b819c5991fe208aaa96edf142730f1d)"
	.section	".note.GNU-stack","",@progbits
	.addrsig
	.addrsig_sym __hip_cuid_42d4179ece820ec9
	.amdgpu_metadata
---
amdhsa.kernels:
  - .args:
      - .actual_access:  read_only
        .address_space:  global
        .offset:         0
        .size:           8
        .value_kind:     global_buffer
      - .offset:         8
        .size:           8
        .value_kind:     by_value
      - .actual_access:  read_only
        .address_space:  global
        .offset:         16
        .size:           8
        .value_kind:     global_buffer
      - .actual_access:  read_only
        .address_space:  global
        .offset:         24
        .size:           8
        .value_kind:     global_buffer
      - .actual_access:  read_only
        .address_space:  global
        .offset:         32
        .size:           8
        .value_kind:     global_buffer
      - .offset:         40
        .size:           8
        .value_kind:     by_value
      - .actual_access:  read_only
        .address_space:  global
        .offset:         48
        .size:           8
        .value_kind:     global_buffer
      - .actual_access:  read_only
        .address_space:  global
        .offset:         56
        .size:           8
        .value_kind:     global_buffer
      - .offset:         64
        .size:           4
        .value_kind:     by_value
      - .actual_access:  read_only
        .address_space:  global
        .offset:         72
        .size:           8
        .value_kind:     global_buffer
      - .actual_access:  read_only
        .address_space:  global
        .offset:         80
        .size:           8
        .value_kind:     global_buffer
      - .actual_access:  read_only
        .address_space:  global
        .offset:         88
        .size:           8
        .value_kind:     global_buffer
      - .actual_access:  write_only
        .address_space:  global
        .offset:         96
        .size:           8
        .value_kind:     global_buffer
    .group_segment_fixed_size: 0
    .kernarg_segment_align: 8
    .kernarg_segment_size: 104
    .language:       OpenCL C
    .language_version:
      - 2
      - 0
    .max_flat_workgroup_size: 153
    .name:           fft_rtc_back_len1836_factors_17_3_3_2_6_wgs_153_tpt_153_halfLds_dp_op_CI_CI_unitstride_sbrr_C2R_dirReg
    .private_segment_fixed_size: 0
    .sgpr_count:     56
    .sgpr_spill_count: 0
    .symbol:         fft_rtc_back_len1836_factors_17_3_3_2_6_wgs_153_tpt_153_halfLds_dp_op_CI_CI_unitstride_sbrr_C2R_dirReg.kd
    .uniform_work_group_size: 1
    .uses_dynamic_stack: false
    .vgpr_count:     172
    .vgpr_spill_count: 0
    .wavefront_size: 32
    .workgroup_processor_mode: 1
amdhsa.target:   amdgcn-amd-amdhsa--gfx1030
amdhsa.version:
  - 1
  - 2
...

	.end_amdgpu_metadata
